;; amdgpu-corpus repo=ROCm/rocFFT kind=compiled arch=gfx1030 opt=O3
	.text
	.amdgcn_target "amdgcn-amd-amdhsa--gfx1030"
	.amdhsa_code_object_version 6
	.protected	fft_rtc_back_len2040_factors_17_4_3_10_wgs_170_tpt_170_halfLds_sp_op_CI_CI_unitstride_sbrr_dirReg ; -- Begin function fft_rtc_back_len2040_factors_17_4_3_10_wgs_170_tpt_170_halfLds_sp_op_CI_CI_unitstride_sbrr_dirReg
	.globl	fft_rtc_back_len2040_factors_17_4_3_10_wgs_170_tpt_170_halfLds_sp_op_CI_CI_unitstride_sbrr_dirReg
	.p2align	8
	.type	fft_rtc_back_len2040_factors_17_4_3_10_wgs_170_tpt_170_halfLds_sp_op_CI_CI_unitstride_sbrr_dirReg,@function
fft_rtc_back_len2040_factors_17_4_3_10_wgs_170_tpt_170_halfLds_sp_op_CI_CI_unitstride_sbrr_dirReg: ; @fft_rtc_back_len2040_factors_17_4_3_10_wgs_170_tpt_170_halfLds_sp_op_CI_CI_unitstride_sbrr_dirReg
; %bb.0:
	s_clause 0x2
	s_load_dwordx4 s[8:11], s[4:5], 0x0
	s_load_dwordx4 s[12:15], s[4:5], 0x58
	;; [unrolled: 1-line block ×3, first 2 shown]
	v_mul_u32_u24_e32 v1, 0x182, v0
	v_mov_b32_e32 v3, 0
	v_mov_b32_e32 v7, 0
	;; [unrolled: 1-line block ×3, first 2 shown]
	v_add_nc_u32_sdwa v9, s6, v1 dst_sel:DWORD dst_unused:UNUSED_PAD src0_sel:DWORD src1_sel:WORD_1
	v_mov_b32_e32 v10, v3
	s_waitcnt lgkmcnt(0)
	v_cmp_lt_u64_e64 s0, s[10:11], 2
	s_and_b32 vcc_lo, exec_lo, s0
	s_cbranch_vccnz .LBB0_8
; %bb.1:
	s_load_dwordx2 s[0:1], s[4:5], 0x10
	v_mov_b32_e32 v7, 0
	v_mov_b32_e32 v8, 0
	s_add_u32 s2, s18, 8
	s_addc_u32 s3, s19, 0
	v_mov_b32_e32 v1, v7
	s_add_u32 s6, s16, 8
	v_mov_b32_e32 v2, v8
	s_addc_u32 s7, s17, 0
	s_mov_b64 s[22:23], 1
	s_waitcnt lgkmcnt(0)
	s_add_u32 s20, s0, 8
	s_addc_u32 s21, s1, 0
.LBB0_2:                                ; =>This Inner Loop Header: Depth=1
	s_load_dwordx2 s[24:25], s[20:21], 0x0
                                        ; implicit-def: $vgpr5_vgpr6
	s_mov_b32 s0, exec_lo
	s_waitcnt lgkmcnt(0)
	v_or_b32_e32 v4, s25, v10
	v_cmpx_ne_u64_e32 0, v[3:4]
	s_xor_b32 s1, exec_lo, s0
	s_cbranch_execz .LBB0_4
; %bb.3:                                ;   in Loop: Header=BB0_2 Depth=1
	v_cvt_f32_u32_e32 v4, s24
	v_cvt_f32_u32_e32 v5, s25
	s_sub_u32 s0, 0, s24
	s_subb_u32 s26, 0, s25
	v_fmac_f32_e32 v4, 0x4f800000, v5
	v_rcp_f32_e32 v4, v4
	v_mul_f32_e32 v4, 0x5f7ffffc, v4
	v_mul_f32_e32 v5, 0x2f800000, v4
	v_trunc_f32_e32 v5, v5
	v_fmac_f32_e32 v4, 0xcf800000, v5
	v_cvt_u32_f32_e32 v5, v5
	v_cvt_u32_f32_e32 v4, v4
	v_mul_lo_u32 v6, s0, v5
	v_mul_hi_u32 v11, s0, v4
	v_mul_lo_u32 v12, s26, v4
	v_add_nc_u32_e32 v6, v11, v6
	v_mul_lo_u32 v11, s0, v4
	v_add_nc_u32_e32 v6, v6, v12
	v_mul_hi_u32 v12, v4, v11
	v_mul_lo_u32 v13, v4, v6
	v_mul_hi_u32 v14, v4, v6
	v_mul_hi_u32 v15, v5, v11
	v_mul_lo_u32 v11, v5, v11
	v_mul_hi_u32 v16, v5, v6
	v_mul_lo_u32 v6, v5, v6
	v_add_co_u32 v12, vcc_lo, v12, v13
	v_add_co_ci_u32_e32 v13, vcc_lo, 0, v14, vcc_lo
	v_add_co_u32 v11, vcc_lo, v12, v11
	v_add_co_ci_u32_e32 v11, vcc_lo, v13, v15, vcc_lo
	v_add_co_ci_u32_e32 v12, vcc_lo, 0, v16, vcc_lo
	v_add_co_u32 v6, vcc_lo, v11, v6
	v_add_co_ci_u32_e32 v11, vcc_lo, 0, v12, vcc_lo
	v_add_co_u32 v4, vcc_lo, v4, v6
	v_add_co_ci_u32_e32 v5, vcc_lo, v5, v11, vcc_lo
	v_mul_hi_u32 v6, s0, v4
	v_mul_lo_u32 v12, s26, v4
	v_mul_lo_u32 v11, s0, v5
	v_add_nc_u32_e32 v6, v6, v11
	v_mul_lo_u32 v11, s0, v4
	v_add_nc_u32_e32 v6, v6, v12
	v_mul_hi_u32 v12, v4, v11
	v_mul_lo_u32 v13, v4, v6
	v_mul_hi_u32 v14, v4, v6
	v_mul_hi_u32 v15, v5, v11
	v_mul_lo_u32 v11, v5, v11
	v_mul_hi_u32 v16, v5, v6
	v_mul_lo_u32 v6, v5, v6
	v_add_co_u32 v12, vcc_lo, v12, v13
	v_add_co_ci_u32_e32 v13, vcc_lo, 0, v14, vcc_lo
	v_add_co_u32 v11, vcc_lo, v12, v11
	v_add_co_ci_u32_e32 v11, vcc_lo, v13, v15, vcc_lo
	v_add_co_ci_u32_e32 v12, vcc_lo, 0, v16, vcc_lo
	v_add_co_u32 v6, vcc_lo, v11, v6
	v_add_co_ci_u32_e32 v11, vcc_lo, 0, v12, vcc_lo
	v_add_co_u32 v6, vcc_lo, v4, v6
	v_add_co_ci_u32_e32 v13, vcc_lo, v5, v11, vcc_lo
	v_mul_hi_u32 v15, v9, v6
	v_mad_u64_u32 v[11:12], null, v10, v6, 0
	v_mad_u64_u32 v[4:5], null, v9, v13, 0
	;; [unrolled: 1-line block ×3, first 2 shown]
	v_add_co_u32 v4, vcc_lo, v15, v4
	v_add_co_ci_u32_e32 v5, vcc_lo, 0, v5, vcc_lo
	v_add_co_u32 v4, vcc_lo, v4, v11
	v_add_co_ci_u32_e32 v4, vcc_lo, v5, v12, vcc_lo
	v_add_co_ci_u32_e32 v5, vcc_lo, 0, v14, vcc_lo
	v_add_co_u32 v11, vcc_lo, v4, v13
	v_add_co_ci_u32_e32 v6, vcc_lo, 0, v5, vcc_lo
	v_mul_lo_u32 v12, s25, v11
	v_mad_u64_u32 v[4:5], null, s24, v11, 0
	v_mul_lo_u32 v13, s24, v6
	v_sub_co_u32 v4, vcc_lo, v9, v4
	v_add3_u32 v5, v5, v13, v12
	v_sub_nc_u32_e32 v12, v10, v5
	v_subrev_co_ci_u32_e64 v12, s0, s25, v12, vcc_lo
	v_add_co_u32 v13, s0, v11, 2
	v_add_co_ci_u32_e64 v14, s0, 0, v6, s0
	v_sub_co_u32 v15, s0, v4, s24
	v_sub_co_ci_u32_e32 v5, vcc_lo, v10, v5, vcc_lo
	v_subrev_co_ci_u32_e64 v12, s0, 0, v12, s0
	v_cmp_le_u32_e32 vcc_lo, s24, v15
	v_cmp_eq_u32_e64 s0, s25, v5
	v_cndmask_b32_e64 v15, 0, -1, vcc_lo
	v_cmp_le_u32_e32 vcc_lo, s25, v12
	v_cndmask_b32_e64 v16, 0, -1, vcc_lo
	v_cmp_le_u32_e32 vcc_lo, s24, v4
	;; [unrolled: 2-line block ×3, first 2 shown]
	v_cndmask_b32_e64 v17, 0, -1, vcc_lo
	v_cmp_eq_u32_e32 vcc_lo, s25, v12
	v_cndmask_b32_e64 v4, v17, v4, s0
	v_cndmask_b32_e32 v12, v16, v15, vcc_lo
	v_add_co_u32 v15, vcc_lo, v11, 1
	v_add_co_ci_u32_e32 v16, vcc_lo, 0, v6, vcc_lo
	v_cmp_ne_u32_e32 vcc_lo, 0, v12
	v_cndmask_b32_e32 v5, v16, v14, vcc_lo
	v_cndmask_b32_e32 v12, v15, v13, vcc_lo
	v_cmp_ne_u32_e32 vcc_lo, 0, v4
	v_cndmask_b32_e32 v6, v6, v5, vcc_lo
	v_cndmask_b32_e32 v5, v11, v12, vcc_lo
.LBB0_4:                                ;   in Loop: Header=BB0_2 Depth=1
	s_andn2_saveexec_b32 s0, s1
	s_cbranch_execz .LBB0_6
; %bb.5:                                ;   in Loop: Header=BB0_2 Depth=1
	v_cvt_f32_u32_e32 v4, s24
	s_sub_i32 s1, 0, s24
	v_rcp_iflag_f32_e32 v4, v4
	v_mul_f32_e32 v4, 0x4f7ffffe, v4
	v_cvt_u32_f32_e32 v4, v4
	v_mul_lo_u32 v5, s1, v4
	v_mul_hi_u32 v5, v4, v5
	v_add_nc_u32_e32 v4, v4, v5
	v_mul_hi_u32 v4, v9, v4
	v_mul_lo_u32 v5, v4, s24
	v_add_nc_u32_e32 v6, 1, v4
	v_sub_nc_u32_e32 v5, v9, v5
	v_subrev_nc_u32_e32 v11, s24, v5
	v_cmp_le_u32_e32 vcc_lo, s24, v5
	v_cndmask_b32_e32 v5, v5, v11, vcc_lo
	v_cndmask_b32_e32 v4, v4, v6, vcc_lo
	v_cmp_le_u32_e32 vcc_lo, s24, v5
	v_add_nc_u32_e32 v6, 1, v4
	v_cndmask_b32_e32 v5, v4, v6, vcc_lo
	v_mov_b32_e32 v6, v3
.LBB0_6:                                ;   in Loop: Header=BB0_2 Depth=1
	s_or_b32 exec_lo, exec_lo, s0
	v_mul_lo_u32 v4, v6, s24
	v_mul_lo_u32 v13, v5, s25
	s_load_dwordx2 s[0:1], s[6:7], 0x0
	v_mad_u64_u32 v[11:12], null, v5, s24, 0
	s_load_dwordx2 s[24:25], s[2:3], 0x0
	s_add_u32 s22, s22, 1
	s_addc_u32 s23, s23, 0
	s_add_u32 s2, s2, 8
	s_addc_u32 s3, s3, 0
	s_add_u32 s6, s6, 8
	v_add3_u32 v4, v12, v13, v4
	v_sub_co_u32 v9, vcc_lo, v9, v11
	s_addc_u32 s7, s7, 0
	s_add_u32 s20, s20, 8
	v_sub_co_ci_u32_e32 v4, vcc_lo, v10, v4, vcc_lo
	s_addc_u32 s21, s21, 0
	s_waitcnt lgkmcnt(0)
	v_mul_lo_u32 v10, s0, v4
	v_mul_lo_u32 v11, s1, v9
	v_mad_u64_u32 v[7:8], null, s0, v9, v[7:8]
	v_mul_lo_u32 v4, s24, v4
	v_mul_lo_u32 v12, s25, v9
	v_mad_u64_u32 v[1:2], null, s24, v9, v[1:2]
	v_cmp_ge_u64_e64 s0, s[22:23], s[10:11]
	v_add3_u32 v8, v11, v8, v10
	v_add3_u32 v2, v12, v2, v4
	s_and_b32 vcc_lo, exec_lo, s0
	s_cbranch_vccnz .LBB0_9
; %bb.7:                                ;   in Loop: Header=BB0_2 Depth=1
	v_mov_b32_e32 v10, v6
	v_mov_b32_e32 v9, v5
	s_branch .LBB0_2
.LBB0_8:
	v_mov_b32_e32 v1, v7
	v_mov_b32_e32 v5, v9
	;; [unrolled: 1-line block ×4, first 2 shown]
.LBB0_9:
	s_load_dwordx2 s[0:1], s[4:5], 0x28
	v_mul_hi_u32 v3, 0x1818182, v0
	s_lshl_b64 s[4:5], s[10:11], 3
	v_mov_b32_e32 v14, 0
	v_mov_b32_e32 v13, 0
	s_add_u32 s2, s18, s4
	s_addc_u32 s3, s19, s5
                                        ; implicit-def: $vgpr49
                                        ; implicit-def: $vgpr47
                                        ; implicit-def: $vgpr45
                                        ; implicit-def: $vgpr43
                                        ; implicit-def: $vgpr41
                                        ; implicit-def: $vgpr39
                                        ; implicit-def: $vgpr37
                                        ; implicit-def: $vgpr35
                                        ; implicit-def: $vgpr33
                                        ; implicit-def: $vgpr29
                                        ; implicit-def: $vgpr19
                                        ; implicit-def: $vgpr21
                                        ; implicit-def: $vgpr23
                                        ; implicit-def: $vgpr25
                                        ; implicit-def: $vgpr27
                                        ; implicit-def: $vgpr31
	v_mul_u32_u24_e32 v3, 0xaa, v3
	v_sub_nc_u32_e32 v3, v0, v3
	s_waitcnt lgkmcnt(0)
	v_cmp_gt_u64_e32 vcc_lo, s[0:1], v[5:6]
	v_cmp_gt_u32_e64 s0, 0x78, v3
	s_and_b32 s1, vcc_lo, s0
	s_and_saveexec_b32 s6, s1
	s_cbranch_execz .LBB0_11
; %bb.10:
	s_add_u32 s4, s16, s4
	s_addc_u32 s5, s17, s5
	v_lshlrev_b64 v[7:8], 3, v[7:8]
	s_load_dwordx2 s[4:5], s[4:5], 0x0
	v_or_b32_e32 v11, 0x780, v3
	s_waitcnt lgkmcnt(0)
	v_mul_lo_u32 v0, s5, v5
	v_mul_lo_u32 v4, s4, v6
	v_mad_u64_u32 v[9:10], null, s4, v5, 0
	v_add3_u32 v10, v10, v4, v0
	v_mov_b32_e32 v4, 0
	v_lshlrev_b64 v[9:10], 3, v[9:10]
	v_add_co_u32 v0, s1, s12, v9
	v_add_co_ci_u32_e64 v12, s1, s13, v10, s1
	v_lshlrev_b64 v[9:10], 3, v[3:4]
	v_add_co_u32 v0, s1, v0, v7
	v_add_co_ci_u32_e64 v23, s1, v12, v8, s1
	v_mov_b32_e32 v12, v4
	v_add_co_u32 v7, s1, v0, v9
	v_add_co_ci_u32_e64 v8, s1, v23, v10, s1
	v_lshlrev_b64 v[9:10], 3, v[11:12]
	v_add_co_u32 v11, s1, 0x800, v7
	v_add_co_ci_u32_e64 v12, s1, 0, v8, s1
	v_add_co_u32 v15, s1, 0x1000, v7
	v_add_co_ci_u32_e64 v16, s1, 0, v8, s1
	;; [unrolled: 2-line block ×6, first 2 shown]
	s_clause 0xb
	global_load_dwordx2 v[13:14], v[7:8], off
	global_load_dwordx2 v[48:49], v[7:8], off offset:960
	global_load_dwordx2 v[46:47], v[7:8], off offset:1920
	;; [unrolled: 1-line block ×11, first 2 shown]
	v_add_co_u32 v7, s1, 0x3800, v7
	v_add_co_ci_u32_e64 v8, s1, 0, v8, s1
	v_add_co_u32 v9, s1, v0, v9
	v_add_co_ci_u32_e64 v10, s1, v23, v10, s1
	s_clause 0x4
	global_load_dwordx2 v[26:27], v[21:22], off offset:1280
	global_load_dwordx2 v[24:25], v[50:51], off offset:192
	;; [unrolled: 1-line block ×4, first 2 shown]
	global_load_dwordx2 v[18:19], v[9:10], off
.LBB0_11:
	s_or_b32 exec_lo, exec_lo, s6
	s_waitcnt vmcnt(0)
	v_sub_f32_e32 v64, v49, v19
	v_add_f32_e32 v62, v48, v18
	v_sub_f32_e32 v67, v47, v21
	v_add_f32_e32 v59, v46, v20
	v_sub_f32_e32 v69, v45, v23
	v_mul_f32_e32 v0, 0xbf2c7751, v64
	v_mul_f32_e32 v17, 0xbf65296c, v64
	;; [unrolled: 1-line block ×4, first 2 shown]
	v_add_f32_e32 v61, v44, v22
	v_fma_f32 v7, 0x3f3d2fb0, v62, -v0
	v_fma_f32 v8, 0x3ee437d1, v62, -v17
	v_mul_f32_e32 v4, 0xbf4c4adb, v69
	v_fma_f32 v9, 0x3dbcf732, v59, -v10
	v_sub_f32_e32 v72, v43, v25
	v_add_f32_e32 v7, v13, v7
	v_fma_f32 v11, 0xbf1a4643, v59, -v50
	v_add_f32_e32 v8, v13, v8
	v_mul_f32_e32 v51, 0x3e3c28d5, v69
	v_add_f32_e32 v63, v42, v24
	v_fma_f32 v12, 0xbf1a4643, v61, -v4
	v_add_f32_e32 v7, v7, v9
	v_sub_f32_e32 v71, v41, v27
	v_mul_f32_e32 v15, 0xbe3c28d5, v72
	v_add_f32_e32 v8, v8, v11
	v_fma_f32 v9, 0xbf7ba420, v61, -v51
	v_mul_f32_e32 v53, 0x3f763a35, v72
	v_add_f32_e32 v7, v7, v12
	v_fma_f32 v11, 0xbf7ba420, v63, -v15
	v_add_f32_e32 v65, v40, v26
	v_mul_f32_e32 v16, 0x3f06c442, v71
	v_add_f32_e32 v8, v8, v9
	v_fma_f32 v9, 0xbe8c1d8e, v63, -v53
	v_mul_f32_e32 v54, 0x3f2c7751, v71
	v_sub_f32_e32 v81, v39, v31
	v_add_f32_e32 v7, v7, v11
	v_fma_f32 v11, 0xbf59a7d5, v65, -v16
	v_add_f32_e32 v8, v8, v9
	v_fma_f32 v9, 0x3f3d2fb0, v65, -v54
	v_add_f32_e32 v68, v38, v30
	v_mul_f32_e32 v52, 0x3f763a35, v81
	v_mul_f32_e32 v56, 0xbeb8f4ab, v81
	v_sub_f32_e32 v82, v37, v29
	v_add_f32_e32 v7, v7, v11
	v_add_f32_e32 v8, v8, v9
	v_fma_f32 v9, 0xbe8c1d8e, v68, -v52
	v_fma_f32 v11, 0x3f6eb680, v68, -v56
	v_add_f32_e32 v70, v36, v28
	v_mul_f32_e32 v55, 0x3f65296c, v82
	v_mul_f32_e32 v57, 0xbf7ee86f, v82
	v_add_f32_e32 v7, v7, v9
	v_add_f32_e32 v8, v8, v11
	v_mul_f32_e32 v87, 0xbf7ee86f, v64
	v_fma_f32 v9, 0x3ee437d1, v70, -v55
	v_fma_f32 v11, 0x3dbcf732, v70, -v57
	v_mul_f32_e32 v88, 0xbe3c28d5, v67
	v_mul_f32_e32 v93, 0xbf763a35, v64
	;; [unrolled: 1-line block ×3, first 2 shown]
	v_add_f32_e32 v7, v9, v7
	v_add_f32_e32 v9, v11, v8
	v_fma_f32 v8, 0x3dbcf732, v62, -v87
	v_fma_f32 v11, 0xbf7ba420, v59, -v88
	;; [unrolled: 1-line block ×3, first 2 shown]
	v_mul_f32_e32 v90, 0x3f763a35, v69
	v_mul_f32_e32 v95, 0x3f2c7751, v69
	v_add_f32_e32 v8, v13, v8
	v_mul_f32_e32 v91, 0x3eb8f4ab, v72
	v_mul_f32_e32 v96, 0xbf65296c, v72
	v_fma_f32 v73, 0xbe8c1d8e, v61, -v90
	v_mul_f32_e32 v83, 0xbf65296c, v71
	v_add_f32_e32 v8, v8, v11
	v_add_f32_e32 v11, v13, v12
	v_fma_f32 v12, 0xbf59a7d5, v59, -v94
	v_fma_f32 v74, 0x3f6eb680, v63, -v91
	v_mul_f32_e32 v97, 0xbe3c28d5, v71
	v_add_f32_e32 v8, v8, v73
	v_mul_f32_e32 v73, 0xbeb8f4ab, v64
	v_add_f32_e32 v11, v11, v12
	v_fma_f32 v12, 0x3f3d2fb0, v61, -v95
	v_fma_f32 v76, 0xbf7ba420, v65, -v97
	v_add_f32_e32 v8, v8, v74
	v_fma_f32 v75, 0x3f6eb680, v62, -v73
	v_mul_f32_e32 v74, 0xbf2c7751, v67
	v_add_f32_e32 v11, v11, v12
	v_fma_f32 v12, 0x3ee437d1, v63, -v96
	v_mul_f32_e32 v84, 0xbf06c442, v81
	;; [unrolled: 3-line block ×4, first 2 shown]
	v_mul_f32_e32 v99, 0x3f7ee86f, v81
	v_sub_f32_e32 v86, v35, v33
	v_add_f32_e32 v11, v11, v76
	v_add_f32_e32 v8, v8, v12
	;; [unrolled: 1-line block ×3, first 2 shown]
	v_fma_f32 v77, 0x3ee437d1, v61, -v75
	v_mul_f32_e32 v76, 0xbf7ee86f, v72
	v_fma_f32 v78, 0xbf59a7d5, v68, -v84
	v_fma_f32 v89, 0xbf1a4643, v70, -v85
	;; [unrolled: 1-line block ×3, first 2 shown]
	v_add_f32_e32 v12, v12, v77
	v_fma_f32 v79, 0x3dbcf732, v63, -v76
	v_mul_f32_e32 v77, 0xbf763a35, v71
	v_add_f32_e32 v8, v8, v78
	v_mul_f32_e32 v78, 0xbf4c4adb, v81
	v_mul_f32_e32 v98, 0xbeb8f4ab, v82
	v_add_f32_e32 v12, v12, v79
	v_fma_f32 v79, 0xbe8c1d8e, v65, -v77
	v_add_f32_e32 v102, v89, v8
	v_add_f32_e32 v66, v34, v32
	v_mul_f32_e32 v58, 0x3eb8f4ab, v86
	v_mul_f32_e32 v60, 0xbf06c442, v86
	v_add_f32_e32 v8, v12, v79
	v_fma_f32 v12, 0xbf1a4643, v68, -v78
	v_mul_f32_e32 v79, 0xbf06c442, v82
	v_add_f32_e32 v11, v11, v80
	v_fma_f32 v103, 0x3f6eb680, v70, -v98
	v_mul_f32_e32 v89, 0x3f2c7751, v86
	v_mul_f32_e32 v92, 0xbf4c4adb, v86
	v_add_f32_e32 v8, v8, v12
	v_fma_f32 v12, 0xbf59a7d5, v70, -v79
	v_mul_f32_e32 v80, 0xbe3c28d5, v86
	v_fma_f32 v100, 0x3f6eb680, v66, -v58
	v_fma_f32 v101, 0xbf59a7d5, v66, -v60
	v_add_f32_e32 v11, v103, v11
	v_fma_f32 v103, 0x3f3d2fb0, v66, -v89
	v_fma_f32 v104, 0xbf1a4643, v66, -v92
	v_add_f32_e32 v105, v12, v8
	v_fma_f32 v106, 0xbf7ba420, v66, -v80
	v_add_f32_e32 v8, v100, v7
	v_add_f32_e32 v7, v101, v9
	;; [unrolled: 1-line block ×5, first 2 shown]
	s_and_saveexec_b32 s1, s0
	s_cbranch_execz .LBB0_13
; %bb.12:
	v_mul_f32_e32 v100, 0xbf7ba420, v62
	v_mul_f32_e32 v101, 0x3f6eb680, v59
	;; [unrolled: 1-line block ×5, first 2 shown]
	v_fmamk_f32 v105, v64, 0x3e3c28d5, v100
	v_fmamk_f32 v109, v67, 0xbeb8f4ab, v101
	v_fmac_f32_e32 v100, 0xbe3c28d5, v64
	v_fmamk_f32 v112, v69, 0x3f06c442, v102
	v_fmac_f32_e32 v101, 0x3eb8f4ab, v67
	v_add_f32_e32 v105, v13, v105
	v_fmac_f32_e32 v102, 0xbf06c442, v69
	v_add_f32_e32 v100, v13, v100
	v_mul_f32_e32 v106, 0xbf59a7d5, v62
	v_mul_f32_e32 v108, 0x3ee437d1, v68
	v_add_f32_e32 v105, v105, v109
	v_fmamk_f32 v109, v72, 0xbf2c7751, v103
	v_add_f32_e32 v100, v100, v101
	v_fmamk_f32 v113, v71, 0x3f4c4adb, v104
	v_fmac_f32_e32 v103, 0x3f2c7751, v72
	v_add_f32_e32 v105, v105, v112
	v_mul_f32_e32 v107, 0x3ee437d1, v59
	v_add_f32_e32 v100, v100, v102
	v_mul_f32_e32 v110, 0xbe8c1d8e, v70
	v_fmamk_f32 v112, v64, 0x3f06c442, v106
	v_add_f32_e32 v105, v105, v109
	v_fmamk_f32 v102, v81, 0xbf65296c, v108
	v_fmac_f32_e32 v104, 0xbf4c4adb, v71
	v_add_f32_e32 v100, v100, v103
	v_mul_f32_e32 v111, 0x3dbcf732, v66
	v_add_f32_e32 v105, v105, v113
	v_fmamk_f32 v101, v67, 0xbf65296c, v107
	v_add_f32_e32 v109, v13, v112
	v_fmamk_f32 v103, v82, 0x3f763a35, v110
	v_fmac_f32_e32 v108, 0x3f65296c, v81
	v_add_f32_e32 v102, v105, v102
	v_add_f32_e32 v100, v100, v104
	v_mul_f32_e32 v104, 0x3dbcf732, v61
	v_add_f32_e32 v101, v109, v101
	v_fmamk_f32 v105, v86, 0xbf7ee86f, v111
	v_fmac_f32_e32 v106, 0xbf06c442, v64
	v_add_f32_e32 v102, v103, v102
	v_add_f32_e32 v100, v100, v108
	v_fmamk_f32 v103, v69, 0x3f7ee86f, v104
	v_mul_f32_e32 v108, 0xbf1a4643, v63
	v_add_f32_e32 v106, v13, v106
	v_fmac_f32_e32 v107, 0x3f65296c, v67
	v_add_f32_e32 v102, v105, v102
	v_add_f32_e32 v101, v101, v103
	v_fmamk_f32 v103, v72, 0xbf4c4adb, v108
	v_mul_f32_e32 v105, 0x3f6eb680, v65
	v_add_f32_e32 v106, v106, v107
	v_fmac_f32_e32 v104, 0xbf7ee86f, v69
	v_mul_f32_e32 v107, 0xbf7ba420, v68
	v_add_f32_e32 v101, v101, v103
	v_fmamk_f32 v103, v71, 0x3eb8f4ab, v105
	v_fmac_f32_e32 v108, 0x3f4c4adb, v72
	v_add_f32_e32 v104, v106, v104
	v_fmac_f32_e32 v110, 0xbf763a35, v82
	v_mul_f32_e32 v106, 0x3f3d2fb0, v70
	v_add_f32_e32 v101, v101, v103
	v_fmamk_f32 v103, v81, 0x3e3c28d5, v107
	v_add_f32_e32 v104, v104, v108
	v_fmac_f32_e32 v105, 0xbeb8f4ab, v71
	v_add_f32_e32 v100, v110, v100
	v_fmac_f32_e32 v111, 0x3f7ee86f, v86
	v_add_f32_e32 v101, v101, v103
	v_mul_f32_e32 v103, 0xbf1a4643, v62
	v_fmamk_f32 v108, v82, 0xbf2c7751, v106
	v_mul_f32_e32 v109, 0xbe8c1d8e, v66
	v_add_f32_e32 v104, v104, v105
	v_mul_f32_e32 v110, 0xbe8c1d8e, v59
	v_fmamk_f32 v105, v64, 0x3f4c4adb, v103
	v_fmac_f32_e32 v107, 0xbe3c28d5, v81
	v_add_f32_e32 v100, v111, v100
	v_add_f32_e32 v101, v108, v101
	v_fmamk_f32 v108, v86, 0x3f763a35, v109
	v_add_f32_e32 v105, v13, v105
	v_fmamk_f32 v111, v67, 0xbf763a35, v110
	v_mul_f32_e32 v112, 0x3f6eb680, v61
	v_add_f32_e32 v104, v104, v107
	v_add_f32_e32 v101, v108, v101
	v_mul_f32_e32 v108, 0xbf59a7d5, v63
	v_add_f32_e32 v105, v105, v111
	v_fmamk_f32 v107, v69, 0x3eb8f4ab, v112
	v_fmac_f32_e32 v103, 0xbf4c4adb, v64
	v_fmac_f32_e32 v110, 0x3f763a35, v67
	v_mul_f32_e32 v67, 0x3dbcf732, v65
	v_fmac_f32_e32 v106, 0x3f2c7751, v82
	v_add_f32_e32 v64, v105, v107
	v_fmamk_f32 v105, v72, 0x3f06c442, v108
	v_add_f32_e32 v103, v13, v103
	v_fmac_f32_e32 v112, 0xbeb8f4ab, v69
	v_add_f32_e32 v104, v106, v104
	v_fmac_f32_e32 v109, 0xbf763a35, v86
	v_add_f32_e32 v64, v64, v105
	v_fmamk_f32 v105, v71, 0xbf7ee86f, v67
	v_add_f32_e32 v103, v103, v110
	v_mul_f32_e32 v69, 0x3f3d2fb0, v68
	v_fmac_f32_e32 v108, 0xbf06c442, v72
	v_add_f32_e32 v104, v109, v104
	v_add_f32_e32 v64, v64, v105
	v_mul_f32_e32 v105, 0xbe8c1d8e, v62
	v_add_f32_e32 v103, v103, v112
	v_mul_f32_e32 v106, 0x3f6eb680, v62
	v_mul_f32_e32 v107, 0x3f3d2fb0, v62
	v_fmamk_f32 v109, v81, 0x3f2c7751, v69
	v_add_f32_e32 v93, v93, v105
	v_mul_f32_e32 v105, 0xbf59a7d5, v59
	v_mul_f32_e32 v72, 0x3ee437d1, v62
	;; [unrolled: 1-line block ×3, first 2 shown]
	v_add_f32_e32 v103, v103, v108
	v_add_f32_e32 v93, v13, v93
	;; [unrolled: 1-line block ×3, first 2 shown]
	v_mul_f32_e32 v105, 0x3f3d2fb0, v61
	v_fmac_f32_e32 v67, 0x3f7ee86f, v71
	v_add_f32_e32 v64, v64, v109
	v_mul_f32_e32 v109, 0x3f3d2fb0, v59
	v_mul_f32_e32 v108, 0x3dbcf732, v59
	;; [unrolled: 1-line block ×4, first 2 shown]
	v_add_f32_e32 v93, v93, v94
	v_add_f32_e32 v95, v95, v105
	;; [unrolled: 1-line block ×3, first 2 shown]
	v_mul_f32_e32 v103, 0x3ee437d1, v63
	v_add_f32_e32 v62, v87, v62
	v_mul_f32_e32 v94, 0x3ee437d1, v61
	v_mul_f32_e32 v105, 0xbf1a4643, v61
	v_fmac_f32_e32 v69, 0xbf2c7751, v81
	v_mul_f32_e32 v81, 0xbf7ba420, v61
	v_add_f32_e32 v93, v93, v95
	v_mul_f32_e32 v95, 0xbf7ba420, v70
	v_mul_f32_e32 v61, 0xbe8c1d8e, v61
	v_add_f32_e32 v96, v96, v103
	v_mul_f32_e32 v103, 0xbf7ba420, v65
	v_add_f32_e32 v59, v88, v59
	v_add_f32_e32 v62, v13, v62
	;; [unrolled: 1-line block ×3, first 2 shown]
	v_fmamk_f32 v69, v82, 0x3e3c28d5, v95
	v_fmac_f32_e32 v95, 0xbe3c28d5, v82
	v_mul_f32_e32 v82, 0x3dbcf732, v63
	v_add_f32_e32 v93, v93, v96
	v_mul_f32_e32 v96, 0xbf7ba420, v63
	v_add_f32_e32 v97, v97, v103
	v_mul_f32_e32 v103, 0xbe8c1d8e, v63
	v_mul_f32_e32 v63, 0x3f6eb680, v63
	v_add_f32_e32 v59, v62, v59
	v_add_f32_e32 v61, v90, v61
	;; [unrolled: 1-line block ×3, first 2 shown]
	v_mul_f32_e32 v69, 0x3dbcf732, v68
	v_add_f32_e32 v63, v91, v63
	v_add_f32_e32 v17, v17, v72
	;; [unrolled: 1-line block ×4, first 2 shown]
	v_mul_f32_e32 v95, 0xbe8c1d8e, v65
	v_add_f32_e32 v93, v93, v97
	v_mul_f32_e32 v97, 0xbf59a7d5, v65
	v_add_f32_e32 v59, v59, v63
	v_add_f32_e32 v63, v13, v48
	;; [unrolled: 1-line block ×3, first 2 shown]
	v_mul_f32_e32 v99, 0x3ee437d1, v66
	v_mul_f32_e32 v87, 0x3f3d2fb0, v65
	;; [unrolled: 1-line block ×3, first 2 shown]
	v_add_f32_e32 v63, v63, v46
	v_add_f32_e32 v50, v50, v71
	;; [unrolled: 1-line block ×3, first 2 shown]
	v_fmamk_f32 v88, v86, 0xbf65296c, v99
	v_fmac_f32_e32 v99, 0x3f65296c, v86
	v_add_f32_e32 v63, v63, v44
	v_mul_f32_e32 v86, 0xbf1a4643, v68
	v_add_f32_e32 v69, v93, v69
	v_mul_f32_e32 v93, 0x3f6eb680, v70
	v_mul_f32_e32 v62, 0xbe8c1d8e, v68
	;; [unrolled: 1-line block ×4, first 2 shown]
	v_add_f32_e32 v65, v83, v65
	v_add_f32_e32 v17, v17, v50
	;; [unrolled: 1-line block ×4, first 2 shown]
	v_mul_f32_e32 v98, 0xbf59a7d5, v70
	v_mul_f32_e32 v61, 0x3ee437d1, v70
	;; [unrolled: 1-line block ×4, first 2 shown]
	v_add_f32_e32 v59, v59, v65
	v_add_f32_e32 v65, v84, v68
	v_add_f32_e32 v50, v50, v40
	v_add_f32_e32 v51, v51, v81
	v_add_f32_e32 v63, v85, v70
	v_add_f32_e32 v0, v0, v107
	v_add_f32_e32 v59, v59, v65
	v_add_f32_e32 v50, v50, v38
	v_add_f32_e32 v17, v17, v51
	v_add_f32_e32 v51, v53, v103
	v_add_f32_e32 v0, v13, v0
	v_add_f32_e32 v53, v63, v59
	v_add_f32_e32 v63, v73, v106
	v_add_f32_e32 v50, v50, v36
	v_add_f32_e32 v17, v17, v51
	v_add_f32_e32 v51, v54, v87
	v_add_f32_e32 v10, v10, v108
	v_add_f32_e32 v54, v13, v63
	v_add_f32_e32 v13, v50, v34
	v_add_f32_e32 v63, v74, v109
	v_add_f32_e32 v17, v17, v51
	v_add_f32_e32 v0, v0, v10
	v_add_f32_e32 v51, v75, v94
	v_add_f32_e32 v10, v13, v32
	v_add_f32_e32 v50, v54, v63
	v_add_f32_e32 v4, v4, v105
	v_add_f32_e32 v13, v56, v90
	v_add_f32_e32 v69, v93, v69
	v_add_f32_e32 v10, v10, v28
	v_add_f32_e32 v50, v50, v51
	v_add_f32_e32 v51, v76, v82
	v_add_f32_e32 v0, v0, v4
	v_add_f32_e32 v4, v15, v96
	v_add_f32_e32 v10, v10, v30
	v_add_f32_e32 v13, v17, v13
	v_add_f32_e32 v15, v50, v51
	v_add_f32_e32 v17, v77, v95
	v_add_f32_e32 v0, v0, v4
	v_add_f32_e32 v4, v16, v97
	v_add_f32_e32 v10, v26, v10
	v_add_f32_e32 v16, v57, v91
	v_add_f32_e32 v15, v15, v17
	v_add_f32_e32 v17, v78, v86
	v_add_f32_e32 v0, v0, v4
	v_add_f32_e32 v4, v52, v62
	v_add_f32_e32 v10, v24, v10
	v_mul_f32_e32 v93, 0xbf7ba420, v66
	v_add_f32_e32 v13, v16, v13
	v_add_f32_e32 v15, v15, v17
	;; [unrolled: 1-line block ×5, first 2 shown]
	v_mul_f32_e32 v83, 0x3f6eb680, v66
	v_mul_f32_e32 v72, 0xbf59a7d5, v66
	v_add_f32_e32 v10, v55, v61
	v_mul_f32_e32 v71, 0x3f3d2fb0, v66
	v_mul_f32_e32 v66, 0xbf1a4643, v66
	v_add_f32_e32 v15, v16, v15
	v_add_f32_e32 v16, v80, v93
	;; [unrolled: 1-line block ×10, first 2 shown]
	v_mad_u32_u24 v16, 0x44, v3, 0
	v_add_f32_e32 v13, v17, v13
	v_add_f32_e32 v0, v10, v0
	;; [unrolled: 1-line block ×6, first 2 shown]
	ds_write2_b32 v16, v4, v15 offset1:1
	ds_write2_b32 v16, v0, v13 offset0:2 offset1:3
	ds_write2_b32 v16, v10, v65 offset0:4 offset1:5
	ds_write2_b32 v16, v17, v104 offset0:6 offset1:7
	ds_write2_b32 v16, v100, v102 offset0:8 offset1:9
	ds_write2_b32 v16, v101, v50 offset0:10 offset1:11
	ds_write2_b32 v16, v11, v12 offset0:12 offset1:13
	ds_write2_b32 v16, v7, v8 offset0:14 offset1:15
	ds_write_b32 v16, v9 offset:64
.LBB0_13:
	s_or_b32 exec_lo, exec_lo, s1
	v_sub_f32_e32 v95, v48, v18
	v_add_f32_e32 v86, v49, v19
	v_sub_f32_e32 v76, v46, v20
	v_add_f32_e32 v70, v47, v21
	v_sub_f32_e32 v71, v44, v22
	v_mul_f32_e32 v105, 0xbeb8f4ab, v95
	v_mul_f32_e32 v100, 0xbf2c7751, v95
	;; [unrolled: 1-line block ×5, first 2 shown]
	v_fmamk_f32 v0, v86, 0x3f6eb680, v105
	v_fmamk_f32 v4, v86, 0x3f3d2fb0, v100
	;; [unrolled: 1-line block ×4, first 2 shown]
	v_mul_f32_e32 v104, 0xbf4c4adb, v76
	v_add_f32_e32 v0, v14, v0
	v_add_f32_e32 v4, v14, v4
	v_fmamk_f32 v17, v70, 0x3dbcf732, v92
	v_add_f32_e32 v10, v14, v10
	v_add_f32_e32 v69, v45, v23
	;; [unrolled: 1-line block ×3, first 2 shown]
	v_mul_f32_e32 v88, 0xbf4c4adb, v71
	v_fmamk_f32 v16, v70, 0xbf1a4643, v104
	v_sub_f32_e32 v65, v42, v24
	v_mul_f32_e32 v97, 0x3e3c28d5, v71
	v_mul_f32_e32 v102, 0xbf7ee86f, v95
	v_add_f32_e32 v4, v4, v17
	v_mul_f32_e32 v89, 0xbf65296c, v71
	v_fmamk_f32 v22, v69, 0xbf1a4643, v88
	v_add_f32_e32 v10, v10, v16
	v_add_f32_e32 v46, v43, v25
	v_mul_f32_e32 v82, 0xbe3c28d5, v65
	v_fmamk_f32 v16, v69, 0xbf7ba420, v97
	v_sub_f32_e32 v44, v40, v26
	v_mul_f32_e32 v91, 0x3f763a35, v65
	v_fmamk_f32 v13, v86, 0x3dbcf732, v102
	v_mul_f32_e32 v99, 0xbe3c28d5, v76
	v_fmamk_f32 v20, v69, 0x3ee437d1, v89
	v_add_f32_e32 v4, v4, v22
	v_mul_f32_e32 v83, 0xbf7ee86f, v65
	v_fmamk_f32 v22, v46, 0xbf7ba420, v82
	v_add_f32_e32 v10, v10, v16
	v_add_f32_e32 v42, v41, v27
	v_mul_f32_e32 v75, 0x3f06c442, v44
	v_fmamk_f32 v16, v46, 0xbe8c1d8e, v91
	v_sub_f32_e32 v40, v38, v30
	v_mul_f32_e32 v85, 0x3f2c7751, v44
	v_add_f32_e32 v13, v14, v13
	v_fmamk_f32 v17, v70, 0xbf7ba420, v99
	v_add_f32_e32 v0, v0, v20
	v_mul_f32_e32 v96, 0x3f763a35, v71
	v_fmamk_f32 v20, v46, 0x3dbcf732, v83
	v_add_f32_e32 v4, v4, v22
	v_mul_f32_e32 v77, 0xbf763a35, v44
	v_fmamk_f32 v22, v42, 0xbf59a7d5, v75
	v_add_f32_e32 v10, v10, v16
	v_add_f32_e32 v38, v39, v31
	v_fmamk_f32 v16, v42, 0x3f3d2fb0, v85
	v_mul_f32_e32 v68, 0x3f763a35, v40
	v_mul_f32_e32 v103, 0xbf763a35, v95
	v_add_f32_e32 v13, v13, v17
	v_fmamk_f32 v17, v69, 0xbe8c1d8e, v96
	v_add_f32_e32 v0, v0, v20
	v_mul_f32_e32 v90, 0x3eb8f4ab, v65
	v_fmamk_f32 v20, v42, 0xbe8c1d8e, v77
	v_add_f32_e32 v4, v4, v22
	v_mul_f32_e32 v67, 0xbf4c4adb, v40
	v_add_f32_e32 v10, v10, v16
	v_fmamk_f32 v16, v38, 0xbe8c1d8e, v68
	v_mul_f32_e32 v72, 0xbeb8f4ab, v40
	v_sub_f32_e32 v36, v36, v28
	v_fmamk_f32 v15, v86, 0xbe8c1d8e, v103
	v_mul_f32_e32 v98, 0x3f06c442, v76
	v_add_f32_e32 v13, v13, v17
	v_fmamk_f32 v17, v46, 0x3f6eb680, v90
	v_add_f32_e32 v0, v0, v20
	v_mul_f32_e32 v84, 0xbf65296c, v44
	v_fmamk_f32 v20, v38, 0xbf1a4643, v67
	v_add_f32_e32 v4, v4, v16
	v_fmamk_f32 v16, v38, 0x3f6eb680, v72
	v_add_f32_e32 v30, v37, v29
	v_mul_f32_e32 v48, 0xbf06c442, v36
	v_add_f32_e32 v15, v14, v15
	v_fmamk_f32 v18, v70, 0xbf59a7d5, v98
	v_mul_f32_e32 v94, 0x3f2c7751, v71
	v_add_f32_e32 v13, v13, v17
	v_fmamk_f32 v17, v42, 0x3ee437d1, v84
	v_add_f32_e32 v0, v0, v20
	v_mul_f32_e32 v73, 0xbf06c442, v40
	v_add_f32_e32 v10, v10, v16
	v_fmamk_f32 v16, v30, 0xbf59a7d5, v48
	v_mul_f32_e32 v63, 0xbf7ee86f, v36
	v_add_f32_e32 v15, v15, v18
	v_fmamk_f32 v18, v69, 0x3f3d2fb0, v94
	;; [unrolled: 3-line block ×4, first 2 shown]
	v_add_f32_e32 v15, v15, v18
	v_fmamk_f32 v18, v46, 0x3ee437d1, v87
	v_mul_f32_e32 v81, 0xbe3c28d5, v44
	v_add_f32_e32 v13, v13, v17
	v_fmamk_f32 v17, v30, 0x3ee437d1, v62
	v_add_f32_e32 v106, v0, v10
	v_lshl_add_u32 v0, v3, 2, 0
	v_add_f32_e32 v15, v15, v18
	v_fmamk_f32 v18, v42, 0xbf7ba420, v81
	v_mul_f32_e32 v74, 0x3f7ee86f, v40
	v_add_f32_e32 v17, v17, v4
	v_add_nc_u32_e32 v4, 0x400, v0
	v_add_nc_u32_e32 v10, 0xf00, v0
	;; [unrolled: 1-line block ×3, first 2 shown]
	v_add_f32_e32 v15, v15, v18
	v_fmamk_f32 v18, v38, 0x3dbcf732, v74
	v_mul_f32_e32 v64, 0xbeb8f4ab, v36
	v_add_nc_u32_e32 v26, 0xa00, v0
	v_add_nc_u32_e32 v22, 0x1a00, v0
	s_waitcnt lgkmcnt(0)
	s_barrier
	buffer_gl0_inv
	ds_read2_b32 v[50:51], v0 offset1:170
	ds_read2_b32 v[52:53], v4 offset0:84 offset1:254
	ds_read2_b32 v[60:61], v10 offset0:60 offset1:230
	;; [unrolled: 1-line block ×5, first 2 shown]
	v_add_f32_e32 v15, v15, v18
	v_mul_f32_e32 v66, 0x3f4c4adb, v36
	v_sub_f32_e32 v28, v34, v32
	v_fmamk_f32 v34, v30, 0x3f6eb680, v64
	v_add_f32_e32 v20, v35, v33
	s_waitcnt lgkmcnt(0)
	v_fmamk_f32 v18, v30, 0xbf1a4643, v66
	v_mul_f32_e32 v32, 0xbe3c28d5, v28
	v_add_f32_e32 v107, v34, v15
	v_mul_f32_e32 v80, 0x3eb8f4ab, v28
	v_mul_f32_e32 v79, 0xbf06c442, v28
	;; [unrolled: 1-line block ×4, first 2 shown]
	v_add_f32_e32 v18, v18, v13
	v_fmamk_f32 v13, v20, 0xbf7ba420, v32
	v_fmamk_f32 v15, v20, 0x3f6eb680, v80
	;; [unrolled: 1-line block ×5, first 2 shown]
	v_add_f32_e32 v13, v13, v16
	v_add_f32_e32 v16, v15, v17
	;; [unrolled: 1-line block ×5, first 2 shown]
	s_barrier
	buffer_gl0_inv
	s_and_saveexec_b32 s1, s0
	s_cbranch_execz .LBB0_15
; %bb.14:
	v_add_f32_e32 v49, v14, v49
	v_mul_f32_e32 v106, 0x3f6eb680, v86
	v_mul_f32_e32 v107, 0x3f3d2fb0, v86
	;; [unrolled: 1-line block ×4, first 2 shown]
	v_add_f32_e32 v47, v49, v47
	v_mul_f32_e32 v49, 0xbe8c1d8e, v86
	v_mul_f32_e32 v137, 0xbf06c442, v95
	;; [unrolled: 1-line block ×4, first 2 shown]
	v_add_f32_e32 v45, v47, v45
	v_mul_f32_e32 v47, 0xbf7ba420, v70
	v_sub_f32_e32 v105, v106, v105
	v_sub_f32_e32 v49, v49, v103
	v_mul_f32_e32 v113, 0xbf59a7d5, v70
	v_add_f32_e32 v43, v45, v43
	v_sub_f32_e32 v92, v111, v92
	v_add_f32_e32 v103, v14, v105
	v_add_f32_e32 v49, v14, v49
	v_sub_f32_e32 v47, v47, v99
	v_add_f32_e32 v41, v43, v41
	v_mul_f32_e32 v99, 0x3f763a35, v76
	v_mul_f32_e32 v115, 0xbf1a4643, v69
	;; [unrolled: 1-line block ×4, first 2 shown]
	v_add_f32_e32 v39, v41, v39
	v_mul_f32_e32 v114, 0x3ee437d1, v69
	v_mul_f32_e32 v117, 0x3f3d2fb0, v69
	;; [unrolled: 1-line block ×3, first 2 shown]
	v_sub_f32_e32 v93, v110, v93
	v_add_f32_e32 v37, v39, v37
	v_mul_f32_e32 v118, 0x3dbcf732, v46
	v_mul_f32_e32 v43, 0xbf7ba420, v46
	;; [unrolled: 1-line block ×3, first 2 shown]
	v_add_f32_e32 v93, v103, v93
	v_add_f32_e32 v35, v37, v35
	v_sub_f32_e32 v45, v45, v97
	v_mul_f32_e32 v120, 0x3f6eb680, v46
	v_mul_f32_e32 v121, 0x3ee437d1, v46
	v_sub_f32_e32 v43, v43, v82
	v_add_f32_e32 v33, v35, v33
	v_mul_f32_e32 v122, 0xbf59a7d5, v42
	v_mul_f32_e32 v41, 0xbe8c1d8e, v42
	;; [unrolled: 1-line block ×4, first 2 shown]
	v_add_f32_e32 v29, v33, v29
	v_mul_f32_e32 v124, 0x3ee437d1, v42
	v_sub_f32_e32 v41, v41, v77
	v_sub_f32_e32 v39, v39, v81
	v_mul_f32_e32 v125, 0xbf1a4643, v38
	v_add_f32_e32 v29, v29, v31
	v_mul_f32_e32 v31, 0xbf4c4adb, v95
	v_mul_f32_e32 v95, 0xbe3c28d5, v95
	;; [unrolled: 1-line block ×4, first 2 shown]
	v_add_f32_e32 v27, v27, v29
	v_sub_f32_e32 v29, v107, v100
	v_sub_f32_e32 v100, v108, v101
	v_sub_f32_e32 v101, v109, v102
	v_fma_f32 v102, 0xbf59a7d5, v86, -v137
	v_add_f32_e32 v25, v25, v27
	v_fma_f32 v27, 0xbf1a4643, v86, -v31
	v_fmac_f32_e32 v31, 0xbf1a4643, v86
	v_fmac_f32_e32 v137, 0xbf59a7d5, v86
	v_add_f32_e32 v29, v14, v29
	v_add_f32_e32 v23, v23, v25
	v_fma_f32 v25, 0xbf7ba420, v86, -v95
	v_fmac_f32_e32 v95, 0xbf7ba420, v86
	v_add_f32_e32 v100, v14, v100
	v_add_f32_e32 v27, v14, v27
	;; [unrolled: 1-line block ×10, first 2 shown]
	v_sub_f32_e32 v95, v112, v104
	v_add_f32_e32 v29, v29, v92
	v_add_f32_e32 v23, v23, v47
	v_fma_f32 v47, 0xbe8c1d8e, v70, -v99
	v_fmac_f32_e32 v99, 0xbe8c1d8e, v70
	v_add_f32_e32 v92, v100, v95
	v_sub_f32_e32 v95, v113, v98
	v_mul_f32_e32 v98, 0x3f65296c, v76
	v_mul_f32_e32 v76, 0x3eb8f4ab, v76
	v_add_f32_e32 v27, v27, v47
	v_add_f32_e32 v45, v92, v45
	;; [unrolled: 1-line block ×3, first 2 shown]
	v_fma_f32 v47, 0x3ee437d1, v70, -v98
	v_fmac_f32_e32 v98, 0x3ee437d1, v70
	v_fma_f32 v95, 0x3f6eb680, v70, -v76
	v_fmac_f32_e32 v76, 0x3f6eb680, v70
	v_mul_f32_e32 v126, 0xbe8c1d8e, v38
	v_add_f32_e32 v21, v21, v47
	v_add_f32_e32 v70, v86, v98
	v_sub_f32_e32 v86, v116, v96
	v_add_f32_e32 v14, v14, v76
	v_sub_f32_e32 v76, v115, v88
	v_mul_f32_e32 v88, 0xbeb8f4ab, v71
	v_sub_f32_e32 v47, v114, v89
	v_add_f32_e32 v23, v23, v86
	v_mul_f32_e32 v89, 0xbf7ee86f, v71
	v_add_f32_e32 v29, v29, v76
	v_sub_f32_e32 v76, v117, v94
	v_fma_f32 v86, 0x3f6eb680, v69, -v88
	v_mul_f32_e32 v71, 0xbf06c442, v71
	v_add_f32_e32 v47, v93, v47
	v_fmac_f32_e32 v88, 0x3f6eb680, v69
	v_add_f32_e32 v49, v49, v76
	v_add_f32_e32 v27, v27, v86
	v_fma_f32 v76, 0x3dbcf732, v69, -v89
	v_fmac_f32_e32 v89, 0x3dbcf732, v69
	v_fma_f32 v86, 0xbf59a7d5, v69, -v71
	v_fmac_f32_e32 v71, 0xbf59a7d5, v69
	v_add_f32_e32 v29, v29, v43
	v_add_f32_e32 v21, v21, v76
	;; [unrolled: 1-line block ×3, first 2 shown]
	v_sub_f32_e32 v70, v118, v83
	v_add_f32_e32 v14, v14, v71
	v_sub_f32_e32 v71, v119, v91
	v_mul_f32_e32 v76, 0xbf06c442, v65
	v_sub_f32_e32 v37, v37, v73
	v_add_f32_e32 v47, v47, v70
	v_sub_f32_e32 v70, v120, v90
	v_add_f32_e32 v43, v45, v71
	v_sub_f32_e32 v45, v121, v87
	v_mul_f32_e32 v71, 0x3f4c4adb, v65
	v_add_f32_e32 v41, v47, v41
	v_add_f32_e32 v23, v23, v70
	v_fma_f32 v70, 0xbf59a7d5, v46, -v76
	v_add_f32_e32 v45, v49, v45
	v_mul_f32_e32 v49, 0x3f2c7751, v65
	v_fma_f32 v65, 0xbf1a4643, v46, -v71
	v_fmac_f32_e32 v71, 0xbf1a4643, v46
	v_add_f32_e32 v27, v27, v70
	v_fmac_f32_e32 v76, 0xbf59a7d5, v46
	v_fma_f32 v70, 0x3f3d2fb0, v46, -v49
	v_fmac_f32_e32 v49, 0x3f3d2fb0, v46
	v_add_f32_e32 v21, v21, v65
	v_add_f32_e32 v46, v69, v71
	v_sub_f32_e32 v47, v123, v85
	v_mul_f32_e32 v69, 0x3f7ee86f, v44
	v_add_f32_e32 v14, v14, v49
	v_sub_f32_e32 v49, v122, v75
	v_add_f32_e32 v39, v45, v39
	v_sub_f32_e32 v65, v124, v84
	v_add_f32_e32 v43, v43, v47
	v_fma_f32 v47, 0x3dbcf732, v42, -v69
	v_add_f32_e32 v29, v29, v49
	v_mul_f32_e32 v49, 0xbeb8f4ab, v44
	v_mul_f32_e32 v44, 0xbf4c4adb, v44
	v_add_f32_e32 v23, v23, v65
	v_fmac_f32_e32 v69, 0x3dbcf732, v42
	v_add_f32_e32 v27, v27, v47
	v_fma_f32 v45, 0x3f6eb680, v42, -v49
	v_fmac_f32_e32 v49, 0x3f6eb680, v42
	v_fma_f32 v47, 0xbf1a4643, v42, -v44
	v_fmac_f32_e32 v44, 0xbf1a4643, v42
	v_mul_f32_e32 v128, 0x3dbcf732, v38
	v_add_f32_e32 v21, v21, v45
	v_sub_f32_e32 v45, v125, v67
	v_add_f32_e32 v42, v46, v49
	v_sub_f32_e32 v46, v127, v72
	;; [unrolled: 2-line block ×3, first 2 shown]
	v_add_f32_e32 v41, v41, v45
	v_mul_f32_e32 v45, 0xbf2c7751, v40
	v_add_f32_e32 v43, v43, v46
	v_add_f32_e32 v23, v23, v37
	v_mul_f32_e32 v46, 0xbe3c28d5, v40
	v_mul_f32_e32 v129, 0xbf59a7d5, v30
	v_fma_f32 v37, 0x3f3d2fb0, v38, -v45
	v_add_f32_e32 v29, v29, v44
	v_sub_f32_e32 v44, v128, v74
	v_mul_f32_e32 v40, 0x3f65296c, v40
	v_mul_f32_e32 v130, 0x3ee437d1, v30
	v_add_f32_e32 v27, v27, v37
	v_fma_f32 v37, 0xbf7ba420, v38, -v46
	v_mul_f32_e32 v35, 0x3dbcf732, v30
	v_mul_f32_e32 v131, 0xbf1a4643, v30
	v_add_f32_e32 v39, v39, v44
	v_fmac_f32_e32 v46, 0xbf7ba420, v38
	v_fma_f32 v44, 0x3ee437d1, v38, -v40
	v_fmac_f32_e32 v40, 0x3ee437d1, v38
	v_add_f32_e32 v21, v21, v37
	v_sub_f32_e32 v37, v129, v48
	v_mul_f32_e32 v132, 0x3f6eb680, v30
	v_fmac_f32_e32 v45, 0x3f3d2fb0, v38
	v_add_f32_e32 v38, v42, v46
	v_add_f32_e32 v14, v14, v40
	v_sub_f32_e32 v40, v130, v62
	v_add_f32_e32 v37, v37, v41
	v_sub_f32_e32 v35, v35, v63
	v_sub_f32_e32 v41, v131, v66
	v_mul_f32_e32 v42, 0xbe3c28d5, v36
	v_add_f32_e32 v25, v25, v95
	v_add_f32_e32 v31, v31, v99
	;; [unrolled: 1-line block ×3, first 2 shown]
	v_sub_f32_e32 v40, v132, v64
	v_add_f32_e32 v35, v35, v43
	v_add_f32_e32 v23, v41, v23
	v_fma_f32 v41, 0xbf7ba420, v30, -v42
	v_mul_f32_e32 v43, 0x3f2c7751, v36
	v_mul_f32_e32 v36, 0xbf763a35, v36
	v_add_f32_e32 v25, v25, v86
	v_add_f32_e32 v31, v31, v88
	v_mul_f32_e32 v33, 0x3f6eb680, v20
	v_mul_f32_e32 v134, 0xbf59a7d5, v20
	v_add_f32_e32 v39, v40, v39
	v_add_f32_e32 v27, v41, v27
	v_fma_f32 v40, 0x3f3d2fb0, v30, -v43
	v_fmac_f32_e32 v43, 0x3f3d2fb0, v30
	v_fma_f32 v41, 0xbe8c1d8e, v30, -v36
	v_fmac_f32_e32 v36, 0xbe8c1d8e, v30
	v_mul_f32_e32 v133, 0xbf7ba420, v20
	v_add_f32_e32 v25, v25, v70
	v_add_f32_e32 v31, v31, v76
	v_fmac_f32_e32 v42, 0xbf7ba420, v30
	v_add_f32_e32 v30, v43, v38
	v_add_f32_e32 v14, v36, v14
	v_sub_f32_e32 v33, v33, v80
	v_sub_f32_e32 v36, v134, v79
	v_mul_f32_e32 v38, 0x3f65296c, v28
	v_mul_f32_e32 v135, 0x3f3d2fb0, v20
	v_add_f32_e32 v25, v25, v47
	v_sub_f32_e32 v32, v133, v32
	v_add_f32_e32 v31, v31, v69
	v_mul_f32_e32 v136, 0xbf1a4643, v20
	v_add_f32_e32 v29, v33, v29
	v_add_f32_e32 v33, v36, v35
	v_fma_f32 v35, 0x3ee437d1, v20, -v38
	v_mul_f32_e32 v36, 0xbf763a35, v28
	v_add_f32_e32 v25, v25, v44
	v_add_f32_e32 v32, v32, v37
	v_sub_f32_e32 v37, v135, v78
	v_mul_f32_e32 v28, 0x3f7ee86f, v28
	v_add_f32_e32 v31, v31, v45
	v_sub_f32_e32 v34, v136, v34
	v_add_f32_e32 v21, v40, v21
	v_add_f32_e32 v27, v35, v27
	v_fma_f32 v35, 0xbe8c1d8e, v20, -v36
	v_add_f32_e32 v25, v41, v25
	v_add_f32_e32 v23, v37, v23
	v_fma_f32 v37, 0x3dbcf732, v20, -v28
	v_fmac_f32_e32 v28, 0x3dbcf732, v20
	v_add_f32_e32 v31, v42, v31
	v_fmac_f32_e32 v38, 0x3ee437d1, v20
	v_fmac_f32_e32 v36, 0xbe8c1d8e, v20
	v_lshl_add_u32 v20, v3, 6, v0
	v_add_f32_e32 v34, v34, v39
	v_add_f32_e32 v21, v35, v21
	;; [unrolled: 1-line block ×6, first 2 shown]
	ds_write2_b32 v20, v19, v32 offset1:1
	ds_write2_b32 v20, v29, v33 offset0:2 offset1:3
	ds_write2_b32 v20, v23, v34 offset0:4 offset1:5
	ds_write2_b32 v20, v27, v21 offset0:6 offset1:7
	ds_write2_b32 v20, v25, v14 offset0:8 offset1:9
	ds_write2_b32 v20, v30, v31 offset0:10 offset1:11
	ds_write2_b32 v20, v17, v18 offset0:12 offset1:13
	ds_write2_b32 v20, v15, v16 offset0:14 offset1:15
	ds_write_b32 v20, v13 offset:64
.LBB0_15:
	s_or_b32 exec_lo, exec_lo, s1
	v_and_b32_e32 v14, 0xff, v3
	v_add_nc_u32_e32 v62, 0xaa, v3
	v_mov_b32_e32 v21, 0xf0f1
	v_add_nc_u32_e32 v49, 0x154, v3
	v_mov_b32_e32 v20, 3
	v_mul_lo_u16 v19, 0xf1, v14
	s_load_dwordx2 s[2:3], s[2:3], 0x0
	v_mul_u32_u24_sdwa v25, v62, v21 dst_sel:DWORD dst_unused:UNUSED_PAD src0_sel:WORD_0 src1_sel:DWORD
	v_mul_u32_u24_sdwa v70, v49, v21 dst_sel:DWORD dst_unused:UNUSED_PAD src0_sel:WORD_0 src1_sel:DWORD
	s_waitcnt lgkmcnt(0)
	v_lshrrev_b16 v23, 12, v19
	s_barrier
	v_lshrrev_b32_e32 v69, 20, v25
	v_lshrrev_b32_e32 v72, 20, v70
	buffer_gl0_inv
	v_mul_lo_u16 v19, v23, 17
	v_mul_lo_u16 v14, 0x79, v14
	v_mov_b32_e32 v76, 0x110
	v_lshrrev_b32_e32 v25, 22, v25
	v_mov_b32_e32 v77, 2
	v_sub_nc_u16 v71, v3, v19
	v_mul_lo_u16 v19, v69, 17
	v_lshrrev_b16 v79, 13, v14
	v_lshrrev_b32_e32 v80, 22, v70
	v_mul_u32_u24_sdwa v14, v23, v76 dst_sel:DWORD dst_unused:UNUSED_PAD src0_sel:WORD_0 src1_sel:DWORD
	v_mul_u32_u24_sdwa v27, v71, v20 dst_sel:DWORD dst_unused:UNUSED_PAD src0_sel:BYTE_0 src1_sel:DWORD
	v_sub_nc_u16 v73, v62, v19
	v_mul_lo_u16 v19, v72, 17
	v_mul_u32_u24_e32 v23, 0x110, v69
	v_mul_lo_u16 v69, 0x44, v79
	v_lshlrev_b32_e32 v31, 3, v27
	v_mul_u32_u24_sdwa v32, v73, v20 dst_sel:DWORD dst_unused:UNUSED_PAD src0_sel:WORD_0 src1_sel:DWORD
	v_sub_nc_u16 v74, v49, v19
	v_mul_lo_u16 v70, 0x44, v25
	v_mul_u32_u24_e32 v72, 0x110, v72
	global_load_dwordx4 v[27:30], v31, s[8:9]
	v_lshlrev_b32_e32 v35, 3, v32
	v_mul_u32_u24_sdwa v36, v74, v20 dst_sel:DWORD dst_unused:UNUSED_PAD src0_sel:WORD_0 src1_sel:DWORD
	v_sub_nc_u16 v82, v3, v69
	s_clause 0x1
	global_load_dwordx2 v[19:20], v31, s[8:9] offset:16
	global_load_dwordx4 v[31:34], v35, s[8:9]
	v_sub_nc_u16 v83, v62, v70
	v_lshlrev_b32_e32 v41, 3, v36
	v_lshlrev_b32_sdwa v69, v77, v71 dst_sel:DWORD dst_unused:UNUSED_PAD src0_sel:DWORD src1_sel:BYTE_0
	s_clause 0x2
	global_load_dwordx2 v[39:40], v35, s[8:9] offset:16
	global_load_dwordx4 v[35:38], v41, s[8:9]
	global_load_dwordx2 v[41:42], v41, s[8:9] offset:16
	ds_read2_b32 v[43:44], v0 offset1:170
	ds_read2_b32 v[45:46], v4 offset0:84 offset1:254
	ds_read2_b32 v[47:48], v10 offset0:60 offset1:230
	;; [unrolled: 1-line block ×5, first 2 shown]
	v_lshlrev_b32_sdwa v70, v77, v73 dst_sel:DWORD dst_unused:UNUSED_PAD src0_sel:DWORD src1_sel:WORD_0
	v_lshlrev_b32_sdwa v71, v77, v74 dst_sel:DWORD dst_unused:UNUSED_PAD src0_sel:DWORD src1_sel:WORD_0
	v_mul_lo_u16 v76, 0x44, v80
	v_add3_u32 v14, 0, v14, v69
	v_add_nc_u32_e32 v75, 0x1fe, v3
	v_add3_u32 v23, 0, v23, v70
	v_add3_u32 v69, 0, v72, v71
	v_sub_nc_u16 v49, v49, v76
	v_mov_b32_e32 v78, 4
	v_mul_u32_u24_sdwa v21, v75, v21 dst_sel:DWORD dst_unused:UNUSED_PAD src0_sel:WORD_0 src1_sel:DWORD
	s_waitcnt vmcnt(0) lgkmcnt(0)
	s_barrier
	buffer_gl0_inv
	v_lshlrev_b32_sdwa v73, v78, v82 dst_sel:DWORD dst_unused:UNUSED_PAD src0_sel:DWORD src1_sel:BYTE_0
	v_lshrrev_b32_e32 v21, 22, v21
	v_lshlrev_b32_sdwa v74, v78, v83 dst_sel:DWORD dst_unused:UNUSED_PAD src0_sel:DWORD src1_sel:WORD_0
	v_mul_u32_u24_e32 v25, 0x330, v25
	v_cmp_gt_u32_e64 s0, 34, v3
	v_mul_lo_u16 v81, 0x44, v21
	v_mul_u32_u24_e32 v21, 0x330, v21
	v_mul_f32_e32 v70, v46, v28
	v_mul_f32_e32 v28, v53, v28
	;; [unrolled: 1-line block ×18, first 2 shown]
	v_fmac_f32_e32 v70, v53, v27
	v_fma_f32 v27, v46, v27, -v28
	v_fma_f32 v28, v47, v29, -v30
	v_fmac_f32_e32 v72, v55, v19
	v_fma_f32 v19, v64, v19, -v20
	v_fmac_f32_e32 v71, v60, v29
	v_fmac_f32_e32 v76, v58, v31
	v_fma_f32 v20, v65, v31, -v32
	v_fmac_f32_e32 v84, v61, v33
	v_fma_f32 v29, v48, v33, -v34
	;; [unrolled: 2-line block ×6, first 2 shown]
	v_sub_f32_e32 v28, v43, v28
	v_sub_f32_e32 v19, v27, v19
	;; [unrolled: 1-line block ×12, first 2 shown]
	v_fma_f32 v41, v43, 2.0, -v28
	v_fma_f32 v27, v27, 2.0, -v19
	;; [unrolled: 1-line block ×8, first 2 shown]
	v_add_f32_e32 v30, v36, v30
	v_sub_f32_e32 v37, v29, v37
	v_fma_f32 v47, v52, 2.0, -v38
	v_fma_f32 v45, v45, 2.0, -v32
	;; [unrolled: 1-line block ×4, first 2 shown]
	v_sub_f32_e32 v35, v28, v35
	v_sub_f32_e32 v27, v41, v27
	v_add_f32_e32 v19, v34, v19
	v_sub_f32_e32 v42, v40, v42
	v_sub_f32_e32 v46, v43, v46
	;; [unrolled: 1-line block ×3, first 2 shown]
	v_add_f32_e32 v33, v38, v33
	v_sub_f32_e32 v39, v32, v39
	v_fma_f32 v20, v36, 2.0, -v30
	v_fma_f32 v36, v29, 2.0, -v37
	v_sub_f32_e32 v29, v47, v48
	v_sub_f32_e32 v31, v45, v31
	v_fma_f32 v28, v28, 2.0, -v35
	v_fma_f32 v41, v41, 2.0, -v27
	;; [unrolled: 1-line block ×10, first 2 shown]
	ds_write2_b32 v14, v42, v19 offset0:34 offset1:51
	ds_write2_b32 v14, v40, v34 offset1:17
	ds_write2_b32 v23, v43, v20 offset1:17
	ds_write2_b32 v23, v46, v30 offset0:34 offset1:51
	ds_write2_b32 v69, v47, v38 offset1:17
	ds_write2_b32 v69, v29, v33 offset0:34 offset1:51
	s_waitcnt lgkmcnt(0)
	s_barrier
	buffer_gl0_inv
	ds_read2_b32 v[29:30], v0 offset1:170
	ds_read2_b32 v[47:48], v26 offset0:40 offset1:210
	ds_read2_b32 v[55:56], v24 offset0:80 offset1:250
	;; [unrolled: 1-line block ×5, first 2 shown]
	s_waitcnt lgkmcnt(0)
	s_barrier
	buffer_gl0_inv
	ds_write2_b32 v14, v41, v28 offset1:17
	ds_write2_b32 v14, v27, v35 offset0:34 offset1:51
	ds_write2_b32 v23, v44, v36 offset1:17
	ds_write2_b32 v23, v50, v37 offset0:34 offset1:51
	;; [unrolled: 2-line block ×3, first 2 shown]
	v_sub_nc_u16 v32, v75, v81
	s_waitcnt lgkmcnt(0)
	s_barrier
	buffer_gl0_inv
	s_clause 0x1
	global_load_dwordx4 v[39:42], v73, s[8:9] offset:408
	global_load_dwordx4 v[43:46], v74, s[8:9] offset:408
	v_lshlrev_b32_sdwa v14, v78, v49 dst_sel:DWORD dst_unused:UNUSED_PAD src0_sel:DWORD src1_sel:WORD_0
	v_lshlrev_b32_sdwa v23, v78, v32 dst_sel:DWORD dst_unused:UNUSED_PAD src0_sel:DWORD src1_sel:WORD_0
	s_clause 0x1
	global_load_dwordx4 v[63:66], v14, s[8:9] offset:408
	global_load_dwordx4 v[67:70], v23, s[8:9] offset:408
	v_mov_b32_e32 v23, 0x330
	ds_read2_b32 v[73:74], v26 offset0:40 offset1:210
	v_lshlrev_b32_sdwa v34, v77, v82 dst_sel:DWORD dst_unused:UNUSED_PAD src0_sel:DWORD src1_sel:BYTE_0
	v_lshlrev_b32_sdwa v36, v77, v83 dst_sel:DWORD dst_unused:UNUSED_PAD src0_sel:DWORD src1_sel:WORD_0
	v_lshlrev_b32_sdwa v37, v77, v49 dst_sel:DWORD dst_unused:UNUSED_PAD src0_sel:DWORD src1_sel:WORD_0
	v_mul_u32_u24_sdwa v33, v79, v23 dst_sel:DWORD dst_unused:UNUSED_PAD src0_sel:WORD_0 src1_sel:DWORD
	ds_read2_b32 v[23:24], v24 offset0:80 offset1:250
	ds_read2_b32 v[75:76], v10 offset0:60 offset1:230
	v_lshlrev_b32_sdwa v10, v77, v32 dst_sel:DWORD dst_unused:UNUSED_PAD src0_sel:DWORD src1_sel:WORD_0
	ds_read2_b32 v[77:78], v22 offset0:36 offset1:206
	v_mul_u32_u24_e32 v26, 0x330, v80
	v_add3_u32 v35, 0, v33, v34
	v_add3_u32 v34, 0, v25, v36
	;; [unrolled: 1-line block ×3, first 2 shown]
	v_add_nc_u32_e32 v14, 0x600, v0
	v_add3_u32 v33, 0, v26, v37
	ds_read2_b32 v[25:26], v0 offset1:170
	ds_read2_b32 v[21:22], v4 offset0:84 offset1:254
	v_add_nc_u32_e32 v27, 0xc00, v0
	v_add_nc_u32_e32 v28, 0x1300, v0
	;; [unrolled: 1-line block ×3, first 2 shown]
	s_waitcnt vmcnt(0) lgkmcnt(0)
	s_barrier
	buffer_gl0_inv
	v_mul_f32_e32 v53, v73, v40
	v_mul_f32_e32 v54, v23, v42
	;; [unrolled: 1-line block ×10, first 2 shown]
	v_fmac_f32_e32 v53, v47, v39
	v_fmac_f32_e32 v54, v55, v41
	v_mul_f32_e32 v42, v48, v44
	v_mul_f32_e32 v44, v56, v46
	v_fmac_f32_e32 v50, v48, v43
	v_fmac_f32_e32 v52, v56, v45
	v_mul_f32_e32 v46, v59, v64
	v_mul_f32_e32 v51, v71, v66
	;; [unrolled: 4-line block ×3, first 2 shown]
	v_fma_f32 v58, v73, v39, -v10
	v_fma_f32 v55, v23, v41, -v40
	v_fmac_f32_e32 v36, v60, v67
	v_fmac_f32_e32 v38, v72, v69
	v_add_f32_e32 v23, v53, v54
	v_fma_f32 v57, v74, v43, -v42
	v_fma_f32 v56, v24, v45, -v44
	v_add_f32_e32 v42, v50, v52
	v_fma_f32 v49, v75, v63, -v46
	v_fma_f32 v39, v77, v65, -v51
	;; [unrolled: 3-line block ×3, first 2 shown]
	v_add_f32_e32 v10, v29, v53
	v_sub_f32_e32 v24, v58, v55
	v_add_f32_e32 v48, v36, v38
	v_fma_f32 v23, -0.5, v23, v29
	v_add_f32_e32 v41, v30, v50
	v_sub_f32_e32 v43, v57, v56
	v_fmac_f32_e32 v30, -0.5, v42
	v_add_f32_e32 v44, v19, v4
	v_sub_f32_e32 v46, v49, v39
	v_add_f32_e32 v47, v20, v36
	v_fma_f32 v42, -0.5, v45, v19
	v_sub_f32_e32 v59, v51, v40
	v_add_f32_e32 v10, v10, v54
	v_fmac_f32_e32 v20, -0.5, v48
	v_fmamk_f32 v45, v24, 0xbf5db3d7, v23
	v_fmac_f32_e32 v23, 0x3f5db3d7, v24
	v_add_f32_e32 v29, v41, v52
	v_fmamk_f32 v24, v43, 0xbf5db3d7, v30
	v_fmac_f32_e32 v30, 0x3f5db3d7, v43
	v_add_f32_e32 v41, v44, v37
	v_add_f32_e32 v44, v47, v38
	v_fmamk_f32 v43, v46, 0xbf5db3d7, v42
	v_fmac_f32_e32 v42, 0x3f5db3d7, v46
	v_fmamk_f32 v19, v59, 0xbf5db3d7, v20
	v_fmac_f32_e32 v20, 0x3f5db3d7, v59
	ds_write2_b32 v35, v10, v45 offset1:68
	ds_write_b32 v35, v23 offset:544
	ds_write2_b32 v34, v29, v24 offset1:68
	ds_write_b32 v34, v30 offset:544
	;; [unrolled: 2-line block ×4, first 2 shown]
	s_waitcnt lgkmcnt(0)
	s_barrier
	buffer_gl0_inv
	ds_read2_b32 v[29:30], v0 offset1:204
	ds_read2_b32 v[45:46], v14 offset0:24 offset1:228
	ds_read2_b32 v[41:42], v27 offset0:48 offset1:252
	;; [unrolled: 1-line block ×4, first 2 shown]
                                        ; implicit-def: $vgpr24
	s_and_saveexec_b32 s1, s0
	s_cbranch_execz .LBB0_17
; %bb.16:
	v_add_nc_u32_e32 v7, 0x200, v0
	v_add_nc_u32_e32 v8, 0x900, v0
	;; [unrolled: 1-line block ×5, first 2 shown]
	ds_read2_b32 v[19:20], v7 offset0:42 offset1:246
	ds_read2_b32 v[11:12], v8 offset0:2 offset1:206
	;; [unrolled: 1-line block ×5, first 2 shown]
.LBB0_17:
	s_or_b32 exec_lo, exec_lo, s1
	v_add_f32_e32 v59, v58, v55
	v_sub_f32_e32 v53, v53, v54
	v_add_f32_e32 v54, v57, v56
	v_add_f32_e32 v58, v25, v58
	v_add_f32_e32 v57, v26, v57
	v_fma_f32 v25, -0.5, v59, v25
	v_sub_f32_e32 v50, v50, v52
	v_fmac_f32_e32 v26, -0.5, v54
	v_add_f32_e32 v52, v58, v55
	v_add_f32_e32 v55, v49, v39
	v_fmamk_f32 v54, v53, 0x3f5db3d7, v25
	v_fmac_f32_e32 v25, 0xbf5db3d7, v53
	v_add_f32_e32 v53, v57, v56
	v_fmamk_f32 v56, v50, 0x3f5db3d7, v26
	v_fmac_f32_e32 v26, 0xbf5db3d7, v50
	v_add_f32_e32 v50, v51, v40
	v_add_f32_e32 v49, v21, v49
	v_fma_f32 v55, -0.5, v55, v21
	v_sub_f32_e32 v4, v4, v37
	v_add_f32_e32 v21, v22, v51
	v_fmac_f32_e32 v22, -0.5, v50
	v_sub_f32_e32 v36, v36, v38
	v_add_f32_e32 v37, v49, v39
	v_fmamk_f32 v38, v4, 0x3f5db3d7, v55
	v_fmac_f32_e32 v55, 0xbf5db3d7, v4
	v_add_f32_e32 v4, v21, v40
	v_fmamk_f32 v21, v36, 0x3f5db3d7, v22
	v_fmac_f32_e32 v22, 0xbf5db3d7, v36
	s_waitcnt lgkmcnt(0)
	s_barrier
	buffer_gl0_inv
	ds_write2_b32 v35, v52, v54 offset1:68
	ds_write_b32 v35, v25 offset:544
	ds_write2_b32 v34, v53, v56 offset1:68
	ds_write_b32 v34, v26 offset:544
	;; [unrolled: 2-line block ×4, first 2 shown]
	s_waitcnt lgkmcnt(0)
	s_barrier
	buffer_gl0_inv
	ds_read2_b32 v[49:50], v0 offset1:204
	ds_read2_b32 v[55:56], v14 offset0:24 offset1:228
	ds_read2_b32 v[51:52], v27 offset0:48 offset1:252
	ds_read2_b32 v[53:54], v28 offset0:8 offset1:212
	ds_read2_b32 v[57:58], v31 offset0:32 offset1:236
                                        ; implicit-def: $vgpr26
	s_and_saveexec_b32 s1, s0
	s_cbranch_execz .LBB0_19
; %bb.18:
	v_add_nc_u32_e32 v4, 0x200, v0
	v_add_nc_u32_e32 v13, 0x900, v0
	;; [unrolled: 1-line block ×5, first 2 shown]
	ds_read2_b32 v[21:22], v4 offset0:42 offset1:246
	ds_read2_b32 v[17:18], v13 offset0:2 offset1:206
	;; [unrolled: 1-line block ×5, first 2 shown]
.LBB0_19:
	s_or_b32 exec_lo, exec_lo, s1
	s_and_saveexec_b32 s1, vcc_lo
	s_cbranch_execz .LBB0_22
; %bb.20:
	v_mul_u32_u24_e32 v0, 9, v3
	v_mul_lo_u32 v6, s2, v6
	v_lshlrev_b32_e32 v0, 3, v0
	s_clause 0x4
	global_load_dwordx4 v[63:66], v0, s[8:9] offset:1496
	global_load_dwordx4 v[67:70], v0, s[8:9] offset:1512
	;; [unrolled: 1-line block ×4, first 2 shown]
	global_load_dwordx2 v[59:60], v0, s[8:9] offset:1560
	v_mul_lo_u32 v0, s3, v5
	v_mad_u64_u32 v[4:5], null, s2, v5, 0
	v_add3_u32 v5, v5, v6, v0
	v_lshlrev_b64 v[0:1], 3, v[1:2]
	v_lshlrev_b64 v[5:6], 3, v[4:5]
	v_mov_b32_e32 v4, 0
	v_add_co_u32 v2, vcc_lo, s14, v5
	v_add_co_ci_u32_e32 v27, vcc_lo, s15, v6, vcc_lo
	v_lshlrev_b64 v[5:6], 3, v[3:4]
	v_add_co_u32 v0, vcc_lo, v2, v0
	v_add_co_ci_u32_e32 v1, vcc_lo, v27, v1, vcc_lo
	v_add_co_u32 v33, vcc_lo, v0, v5
	v_add_co_ci_u32_e32 v34, vcc_lo, v1, v6, vcc_lo
	;; [unrolled: 2-line block ×9, first 2 shown]
	s_waitcnt vmcnt(4)
	v_mul_f32_e32 v2, v45, v66
	s_waitcnt vmcnt(3)
	v_mul_f32_e32 v61, v41, v70
	s_waitcnt vmcnt(2)
	v_mul_f32_e32 v79, v47, v74
	s_waitcnt vmcnt(1)
	v_mul_f32_e32 v80, v43, v78
	v_mul_f32_e32 v81, v46, v67
	v_mul_f32_e32 v82, v42, v75
	s_waitcnt vmcnt(0)
	v_mul_f32_e32 v83, v48, v59
	v_mul_f32_e32 v84, v44, v71
	;; [unrolled: 1-line block ×4, first 2 shown]
	s_waitcnt lgkmcnt(2)
	v_mul_f32_e32 v70, v51, v70
	s_waitcnt lgkmcnt(1)
	v_mul_f32_e32 v78, v53, v78
	v_mul_f32_e32 v46, v46, v68
	;; [unrolled: 1-line block ×6, first 2 shown]
	v_fma_f32 v2, v55, v65, -v2
	v_fma_f32 v51, v51, v69, -v61
	s_waitcnt lgkmcnt(0)
	v_fma_f32 v55, v57, v73, -v79
	v_fma_f32 v53, v53, v77, -v80
	v_fmac_f32_e32 v81, v56, v68
	v_fmac_f32_e32 v82, v52, v76
	;; [unrolled: 1-line block ×4, first 2 shown]
	v_fma_f32 v42, v52, v75, -v42
	v_fma_f32 v44, v54, v71, -v44
	v_mul_f32_e32 v74, v57, v74
	v_fmac_f32_e32 v70, v41, v69
	v_fmac_f32_e32 v78, v43, v77
	v_fma_f32 v41, v56, v67, -v46
	v_fma_f32 v43, v58, v59, -v48
	v_fmac_f32_e32 v66, v45, v65
	v_fmac_f32_e32 v85, v50, v64
	v_fma_f32 v30, v50, v63, -v30
	v_sub_f32_e32 v45, v2, v51
	v_sub_f32_e32 v46, v55, v53
	;; [unrolled: 1-line block ×4, first 2 shown]
	v_add_f32_e32 v56, v82, v84
	v_add_f32_e32 v61, v42, v44
	v_fmac_f32_e32 v74, v47, v73
	v_sub_f32_e32 v59, v41, v42
	v_sub_f32_e32 v60, v43, v44
	;; [unrolled: 1-line block ×4, first 2 shown]
	v_add_f32_e32 v76, v41, v43
	v_sub_f32_e32 v63, v81, v83
	v_add_f32_e32 v72, v81, v83
	v_add_f32_e32 v45, v45, v46
	v_add_f32_e32 v46, v52, v54
	v_fma_f32 v52, -0.5, v56, v85
	v_fma_f32 v56, -0.5, v61, v30
	v_sub_f32_e32 v64, v82, v84
	v_sub_f32_e32 v69, v82, v81
	;; [unrolled: 1-line block ×3, first 2 shown]
	v_add_f32_e32 v90, v66, v74
	v_add_f32_e32 v54, v59, v60
	;; [unrolled: 1-line block ×3, first 2 shown]
	v_fma_f32 v67, -0.5, v76, v30
	v_add_f32_e32 v47, v51, v53
	v_sub_f32_e32 v48, v66, v74
	v_sub_f32_e32 v57, v41, v43
	v_add_f32_e32 v68, v2, v55
	v_sub_f32_e32 v73, v42, v41
	v_add_f32_e32 v77, v49, v2
	v_add_f32_e32 v41, v41, v30
	v_sub_f32_e32 v79, v66, v70
	v_add_f32_e32 v86, v70, v78
	v_sub_f32_e32 v88, v70, v66
	v_add_f32_e32 v66, v29, v66
	v_add_f32_e32 v81, v81, v85
	v_fma_f32 v61, -0.5, v72, v85
	v_fmamk_f32 v72, v63, 0xbf737871, v56
	v_fmac_f32_e32 v56, 0x3f737871, v63
	v_sub_f32_e32 v58, v42, v44
	v_sub_f32_e32 v75, v44, v43
	;; [unrolled: 1-line block ×4, first 2 shown]
	v_add_f32_e32 v60, v69, v71
	v_fma_f32 v69, -0.5, v90, v29
	v_fmamk_f32 v76, v64, 0x3f737871, v67
	v_fmac_f32_e32 v67, 0xbf737871, v64
	v_fma_f32 v47, -0.5, v47, v49
	v_sub_f32_e32 v50, v70, v78
	v_sub_f32_e32 v2, v2, v55
	v_fma_f32 v49, -0.5, v68, v49
	v_add_f32_e32 v30, v77, v51
	v_add_f32_e32 v41, v42, v41
	v_fma_f32 v68, -0.5, v86, v29
	v_add_f32_e32 v29, v66, v70
	v_add_f32_e32 v66, v82, v81
	v_fmamk_f32 v71, v57, 0x3f737871, v52
	v_fmac_f32_e32 v52, 0xbf737871, v57
	v_fmac_f32_e32 v56, 0x3f167918, v64
	v_sub_f32_e32 v89, v78, v74
	v_add_f32_e32 v65, v73, v75
	v_add_f32_e32 v42, v79, v80
	v_fmamk_f32 v75, v58, 0xbf737871, v61
	v_fmac_f32_e32 v61, 0x3f737871, v58
	v_fmamk_f32 v79, v87, 0xbf737871, v69
	v_fmac_f32_e32 v69, 0x3f737871, v87
	v_fmac_f32_e32 v67, 0x3f167918, v63
	v_fmamk_f32 v70, v48, 0xbf737871, v47
	v_fmac_f32_e32 v47, 0x3f737871, v48
	;; [unrolled: 3-line block ×3, first 2 shown]
	v_add_f32_e32 v30, v30, v53
	v_add_f32_e32 v41, v44, v41
	v_fmamk_f32 v77, v2, 0x3f737871, v68
	v_fmac_f32_e32 v68, 0xbf737871, v2
	v_add_f32_e32 v29, v29, v78
	v_add_f32_e32 v44, v84, v66
	v_fmac_f32_e32 v72, 0xbf167918, v64
	v_fmac_f32_e32 v52, 0xbf167918, v58
	v_fmac_f32_e32 v56, 0x3e9e377a, v54
	v_add_f32_e32 v51, v88, v89
	v_fmac_f32_e32 v61, 0xbf167918, v57
	v_fmac_f32_e32 v79, 0x3f167918, v2
	;; [unrolled: 1-line block ×11, first 2 shown]
	v_add_f32_e32 v48, v55, v30
	v_add_f32_e32 v41, v43, v41
	v_fmac_f32_e32 v77, 0x3f167918, v87
	v_fmac_f32_e32 v68, 0xbf167918, v87
	v_add_f32_e32 v2, v74, v29
	v_add_f32_e32 v43, v83, v44
	v_fmac_f32_e32 v72, 0x3e9e377a, v54
	v_fmac_f32_e32 v52, 0x3e9e377a, v46
	v_mul_f32_e32 v53, 0x3f4f1bbd, v56
	v_mul_f32_e32 v56, 0xbf167918, v56
	v_fmac_f32_e32 v61, 0x3e9e377a, v60
	v_fmac_f32_e32 v79, 0x3e9e377a, v51
	v_fmac_f32_e32 v69, 0x3e9e377a, v51
	v_mul_f32_e32 v51, 0x3e9e377a, v67
	v_mul_f32_e32 v58, 0xbf737871, v67
	v_fmac_f32_e32 v70, 0x3e9e377a, v45
	;; [unrolled: 5-line block ×3, first 2 shown]
	v_sub_f32_e32 v30, v48, v41
	v_fmac_f32_e32 v77, 0x3e9e377a, v42
	v_fmac_f32_e32 v68, 0x3e9e377a, v42
	v_sub_f32_e32 v29, v2, v43
	v_add_f32_e32 v42, v48, v41
	v_add_f32_e32 v41, v2, v43
	v_mul_f32_e32 v2, 0xbf4f1bbd, v72
	v_mul_f32_e32 v55, 0xbf167918, v72
	v_fmac_f32_e32 v53, 0x3f167918, v52
	v_fmac_f32_e32 v56, 0x3f4f1bbd, v52
	v_fmac_f32_e32 v49, 0x3e9e377a, v59
	v_fmac_f32_e32 v51, 0x3f737871, v61
	v_fmac_f32_e32 v58, 0x3e9e377a, v61
	v_fmac_f32_e32 v73, 0x3e9e377a, v59
	v_fmac_f32_e32 v45, 0x3f737871, v75
	v_fmac_f32_e32 v57, 0xbe9e377a, v75
	v_fmac_f32_e32 v2, 0x3f167918, v71
	v_fmac_f32_e32 v55, 0xbf4f1bbd, v71
	v_sub_f32_e32 v46, v47, v53
	v_add_f32_e32 v54, v47, v53
	v_add_f32_e32 v53, v68, v56
	v_sub_f32_e32 v44, v49, v51
	v_add_f32_e32 v52, v49, v51
	v_add_f32_e32 v51, v69, v58
	;; [unrolled: 1-line block ×6, first 2 shown]
	global_store_dwordx2 v[33:34], v[41:42], off
	global_store_dwordx2 v[27:28], v[29:30], off offset:2016
	v_sub_f32_e32 v42, v73, v45
	v_sub_f32_e32 v45, v68, v56
	;; [unrolled: 1-line block ×6, first 2 shown]
	global_store_dwordx2 v[33:34], v[53:54], off offset:1632
	global_store_dwordx2 v[0:1], v[51:52], off offset:1216
	global_store_dwordx2 v[5:6], v[49:50], off offset:800
	global_store_dwordx2 v[27:28], v[47:48], off offset:384
	global_store_dwordx2 v[39:40], v[45:46], off offset:1600
	global_store_dwordx2 v[31:32], v[43:44], off offset:1184
	global_store_dwordx2 v[35:36], v[41:42], off offset:768
	global_store_dwordx2 v[37:38], v[29:30], off offset:352
	s_and_b32 exec_lo, exec_lo, s0
	s_cbranch_execz .LBB0_22
; %bb.21:
	v_subrev_nc_u32_e32 v2, 34, v3
	v_cndmask_b32_e64 v2, v2, v62, s0
	v_mul_i32_i24_e32 v3, 9, v2
	v_lshlrev_b64 v[2:3], 3, v[3:4]
	v_add_co_u32 v2, vcc_lo, s8, v2
	v_add_co_ci_u32_e32 v3, vcc_lo, s9, v3, vcc_lo
	s_clause 0x4
	global_load_dwordx4 v[41:44], v[2:3], off offset:1496
	global_load_dwordx4 v[45:48], v[2:3], off offset:1512
	;; [unrolled: 1-line block ×4, first 2 shown]
	global_load_dwordx2 v[2:3], v[2:3], off offset:1560
	s_waitcnt vmcnt(4)
	v_mul_f32_e32 v4, v22, v42
	v_mul_f32_e32 v29, v20, v42
	v_mul_f32_e32 v30, v17, v44
	v_mul_f32_e32 v42, v11, v44
	s_waitcnt vmcnt(3)
	v_mul_f32_e32 v44, v18, v46
	v_mul_f32_e32 v46, v12, v46
	v_mul_f32_e32 v57, v15, v48
	v_mul_f32_e32 v48, v7, v48
	;; [unrolled: 5-line block ×4, first 2 shown]
	s_waitcnt vmcnt(0)
	v_mul_f32_e32 v62, v26, v3
	v_mul_f32_e32 v3, v24, v3
	v_fmac_f32_e32 v4, v20, v41
	v_fma_f32 v20, v22, v41, -v29
	v_fmac_f32_e32 v30, v11, v43
	v_fma_f32 v11, v17, v43, -v42
	;; [unrolled: 2-line block ×9, first 2 shown]
	v_sub_f32_e32 v17, v30, v57
	v_sub_f32_e32 v18, v61, v59
	v_sub_f32_e32 v23, v57, v30
	v_sub_f32_e32 v24, v59, v61
	v_sub_f32_e32 v41, v11, v7
	v_sub_f32_e32 v42, v13, v9
	v_add_f32_e32 v55, v20, v12
	v_add_f32_e32 v56, v8, v10
	;; [unrolled: 1-line block ×9, first 2 shown]
	v_sub_f32_e32 v48, v12, v2
	v_sub_f32_e32 v49, v8, v10
	;; [unrolled: 1-line block ×3, first 2 shown]
	v_add_f32_e32 v52, v44, v62
	v_sub_f32_e32 v53, v58, v44
	v_sub_f32_e32 v44, v44, v62
	v_sub_f32_e32 v64, v12, v8
	v_sub_f32_e32 v12, v8, v12
	v_add_f32_e32 v17, v17, v18
	v_add_f32_e32 v18, v23, v24
	;; [unrolled: 1-line block ×4, first 2 shown]
	v_fma_f32 v42, -0.5, v56, v20
	v_sub_f32_e32 v63, v58, v60
	v_fmac_f32_e32 v20, -0.5, v66
	v_add_f32_e32 v3, v19, v30
	v_sub_f32_e32 v15, v11, v13
	v_sub_f32_e32 v16, v7, v9
	;; [unrolled: 1-line block ×3, first 2 shown]
	v_add_f32_e32 v43, v11, v13
	v_sub_f32_e32 v11, v7, v11
	v_sub_f32_e32 v65, v2, v10
	;; [unrolled: 1-line block ×3, first 2 shown]
	v_fma_f32 v14, -0.5, v14, v19
	v_fmac_f32_e32 v19, -0.5, v22
	v_add_f32_e32 v7, v25, v7
	v_fma_f32 v22, -0.5, v26, v21
	v_add_f32_e32 v24, v46, v58
	v_fma_f32 v25, -0.5, v47, v4
	v_add_f32_e32 v8, v8, v10
	v_fmamk_f32 v10, v44, 0x3f737871, v42
	v_sub_f32_e32 v51, v62, v60
	v_fmac_f32_e32 v4, -0.5, v52
	v_fmamk_f32 v52, v63, 0xbf737871, v20
	v_fmac_f32_e32 v20, 0x3f737871, v63
	v_fmac_f32_e32 v42, 0xbf737871, v44
	v_sub_f32_e32 v30, v57, v59
	v_sub_f32_e32 v45, v9, v13
	v_add_f32_e32 v3, v3, v57
	v_fmac_f32_e32 v21, -0.5, v43
	v_add_f32_e32 v43, v64, v65
	v_add_f32_e32 v7, v7, v9
	v_fmamk_f32 v47, v29, 0x3f737871, v22
	v_fmac_f32_e32 v22, 0xbf737871, v29
	v_add_f32_e32 v9, v24, v60
	v_fmamk_f32 v24, v48, 0xbf737871, v25
	v_fmac_f32_e32 v10, 0x3f167918, v63
	v_sub_f32_e32 v54, v60, v62
	v_add_f32_e32 v26, v50, v51
	v_add_f32_e32 v12, v12, v67
	v_fmac_f32_e32 v25, 0x3f737871, v48
	v_fmamk_f32 v51, v49, 0x3f737871, v4
	v_fmac_f32_e32 v52, 0x3f167918, v44
	v_fmac_f32_e32 v4, 0xbf737871, v49
	;; [unrolled: 1-line block ×3, first 2 shown]
	v_fmamk_f32 v46, v16, 0x3f737871, v19
	v_fmac_f32_e32 v19, 0xbf737871, v16
	v_fmac_f32_e32 v42, 0xbf167918, v63
	v_add_f32_e32 v11, v11, v45
	v_add_f32_e32 v3, v3, v59
	v_fmamk_f32 v45, v15, 0xbf737871, v14
	v_add_f32_e32 v13, v7, v13
	v_fmac_f32_e32 v47, 0x3f167918, v30
	v_fmac_f32_e32 v22, 0xbf167918, v30
	v_fmac_f32_e32 v24, 0xbf167918, v49
	v_add_f32_e32 v8, v8, v2
	v_fmac_f32_e32 v10, 0x3e9e377a, v43
	v_add_f32_e32 v41, v53, v54
	v_fmamk_f32 v50, v30, 0xbf737871, v21
	v_fmac_f32_e32 v25, 0x3f167918, v49
	v_fmac_f32_e32 v51, 0xbf167918, v48
	;; [unrolled: 1-line block ×10, first 2 shown]
	v_add_f32_e32 v53, v3, v61
	v_fmac_f32_e32 v45, 0xbf167918, v16
	v_add_f32_e32 v7, v9, v62
	v_fmac_f32_e32 v47, 0x3e9e377a, v23
	v_fmac_f32_e32 v22, 0x3e9e377a, v23
	;; [unrolled: 1-line block ×3, first 2 shown]
	v_add_f32_e32 v3, v13, v8
	v_sub_f32_e32 v8, v13, v8
	v_mul_f32_e32 v13, 0xbf167918, v10
	v_mul_f32_e32 v23, 0x3f4f1bbd, v10
	v_fmac_f32_e32 v50, 0x3f167918, v29
	v_fmac_f32_e32 v25, 0x3e9e377a, v26
	;; [unrolled: 1-line block ×3, first 2 shown]
	v_mul_f32_e32 v15, 0xbf737871, v52
	v_mul_f32_e32 v26, 0x3e9e377a, v52
	v_fmac_f32_e32 v14, 0x3f167918, v16
	v_fmac_f32_e32 v21, 0xbf167918, v29
	;; [unrolled: 1-line block ×3, first 2 shown]
	v_mul_f32_e32 v16, 0xbf737871, v20
	v_mul_f32_e32 v20, 0xbe9e377a, v20
	v_fmac_f32_e32 v46, 0x3e9e377a, v18
	v_fmac_f32_e32 v19, 0x3e9e377a, v18
	v_mul_f32_e32 v18, 0xbf167918, v42
	v_mul_f32_e32 v29, 0xbf4f1bbd, v42
	v_fmac_f32_e32 v45, 0x3e9e377a, v17
	v_add_f32_e32 v2, v53, v7
	v_fmac_f32_e32 v13, 0x3f4f1bbd, v24
	v_fmac_f32_e32 v23, 0x3f167918, v24
	;; [unrolled: 1-line block ×3, first 2 shown]
	v_sub_f32_e32 v7, v53, v7
	v_fmac_f32_e32 v15, 0x3e9e377a, v51
	v_fmac_f32_e32 v26, 0x3f737871, v51
	;; [unrolled: 1-line block ×8, first 2 shown]
	global_store_dwordx2 v[33:34], v[2:3], off offset:1360
	global_store_dwordx2 v[39:40], v[7:8], off offset:1328
	v_add_f32_e32 v2, v45, v13
	v_add_f32_e32 v3, v47, v23
	;; [unrolled: 1-line block ×8, first 2 shown]
	v_sub_f32_e32 v13, v45, v13
	v_sub_f32_e32 v17, v19, v16
	;; [unrolled: 1-line block ×8, first 2 shown]
	global_store_dwordx2 v[0:1], v[2:3], off offset:944
	global_store_dwordx2 v[5:6], v[7:8], off offset:528
	;; [unrolled: 1-line block ×8, first 2 shown]
.LBB0_22:
	s_endpgm
	.section	.rodata,"a",@progbits
	.p2align	6, 0x0
	.amdhsa_kernel fft_rtc_back_len2040_factors_17_4_3_10_wgs_170_tpt_170_halfLds_sp_op_CI_CI_unitstride_sbrr_dirReg
		.amdhsa_group_segment_fixed_size 0
		.amdhsa_private_segment_fixed_size 0
		.amdhsa_kernarg_size 104
		.amdhsa_user_sgpr_count 6
		.amdhsa_user_sgpr_private_segment_buffer 1
		.amdhsa_user_sgpr_dispatch_ptr 0
		.amdhsa_user_sgpr_queue_ptr 0
		.amdhsa_user_sgpr_kernarg_segment_ptr 1
		.amdhsa_user_sgpr_dispatch_id 0
		.amdhsa_user_sgpr_flat_scratch_init 0
		.amdhsa_user_sgpr_private_segment_size 0
		.amdhsa_wavefront_size32 1
		.amdhsa_uses_dynamic_stack 0
		.amdhsa_system_sgpr_private_segment_wavefront_offset 0
		.amdhsa_system_sgpr_workgroup_id_x 1
		.amdhsa_system_sgpr_workgroup_id_y 0
		.amdhsa_system_sgpr_workgroup_id_z 0
		.amdhsa_system_sgpr_workgroup_info 0
		.amdhsa_system_vgpr_workitem_id 0
		.amdhsa_next_free_vgpr 138
		.amdhsa_next_free_sgpr 27
		.amdhsa_reserve_vcc 1
		.amdhsa_reserve_flat_scratch 0
		.amdhsa_float_round_mode_32 0
		.amdhsa_float_round_mode_16_64 0
		.amdhsa_float_denorm_mode_32 3
		.amdhsa_float_denorm_mode_16_64 3
		.amdhsa_dx10_clamp 1
		.amdhsa_ieee_mode 1
		.amdhsa_fp16_overflow 0
		.amdhsa_workgroup_processor_mode 1
		.amdhsa_memory_ordered 1
		.amdhsa_forward_progress 0
		.amdhsa_shared_vgpr_count 0
		.amdhsa_exception_fp_ieee_invalid_op 0
		.amdhsa_exception_fp_denorm_src 0
		.amdhsa_exception_fp_ieee_div_zero 0
		.amdhsa_exception_fp_ieee_overflow 0
		.amdhsa_exception_fp_ieee_underflow 0
		.amdhsa_exception_fp_ieee_inexact 0
		.amdhsa_exception_int_div_zero 0
	.end_amdhsa_kernel
	.text
.Lfunc_end0:
	.size	fft_rtc_back_len2040_factors_17_4_3_10_wgs_170_tpt_170_halfLds_sp_op_CI_CI_unitstride_sbrr_dirReg, .Lfunc_end0-fft_rtc_back_len2040_factors_17_4_3_10_wgs_170_tpt_170_halfLds_sp_op_CI_CI_unitstride_sbrr_dirReg
                                        ; -- End function
	.section	.AMDGPU.csdata,"",@progbits
; Kernel info:
; codeLenInByte = 11940
; NumSgprs: 29
; NumVgprs: 138
; ScratchSize: 0
; MemoryBound: 0
; FloatMode: 240
; IeeeMode: 1
; LDSByteSize: 0 bytes/workgroup (compile time only)
; SGPRBlocks: 3
; VGPRBlocks: 17
; NumSGPRsForWavesPerEU: 29
; NumVGPRsForWavesPerEU: 138
; Occupancy: 7
; WaveLimiterHint : 1
; COMPUTE_PGM_RSRC2:SCRATCH_EN: 0
; COMPUTE_PGM_RSRC2:USER_SGPR: 6
; COMPUTE_PGM_RSRC2:TRAP_HANDLER: 0
; COMPUTE_PGM_RSRC2:TGID_X_EN: 1
; COMPUTE_PGM_RSRC2:TGID_Y_EN: 0
; COMPUTE_PGM_RSRC2:TGID_Z_EN: 0
; COMPUTE_PGM_RSRC2:TIDIG_COMP_CNT: 0
	.text
	.p2alignl 6, 3214868480
	.fill 48, 4, 3214868480
	.type	__hip_cuid_965aa2b9f54c9f85,@object ; @__hip_cuid_965aa2b9f54c9f85
	.section	.bss,"aw",@nobits
	.globl	__hip_cuid_965aa2b9f54c9f85
__hip_cuid_965aa2b9f54c9f85:
	.byte	0                               ; 0x0
	.size	__hip_cuid_965aa2b9f54c9f85, 1

	.ident	"AMD clang version 19.0.0git (https://github.com/RadeonOpenCompute/llvm-project roc-6.4.0 25133 c7fe45cf4b819c5991fe208aaa96edf142730f1d)"
	.section	".note.GNU-stack","",@progbits
	.addrsig
	.addrsig_sym __hip_cuid_965aa2b9f54c9f85
	.amdgpu_metadata
---
amdhsa.kernels:
  - .args:
      - .actual_access:  read_only
        .address_space:  global
        .offset:         0
        .size:           8
        .value_kind:     global_buffer
      - .offset:         8
        .size:           8
        .value_kind:     by_value
      - .actual_access:  read_only
        .address_space:  global
        .offset:         16
        .size:           8
        .value_kind:     global_buffer
      - .actual_access:  read_only
        .address_space:  global
        .offset:         24
        .size:           8
        .value_kind:     global_buffer
      - .actual_access:  read_only
        .address_space:  global
        .offset:         32
        .size:           8
        .value_kind:     global_buffer
      - .offset:         40
        .size:           8
        .value_kind:     by_value
      - .actual_access:  read_only
        .address_space:  global
        .offset:         48
        .size:           8
        .value_kind:     global_buffer
      - .actual_access:  read_only
        .address_space:  global
        .offset:         56
        .size:           8
        .value_kind:     global_buffer
      - .offset:         64
        .size:           4
        .value_kind:     by_value
      - .actual_access:  read_only
        .address_space:  global
        .offset:         72
        .size:           8
        .value_kind:     global_buffer
      - .actual_access:  read_only
        .address_space:  global
        .offset:         80
        .size:           8
        .value_kind:     global_buffer
      - .actual_access:  read_only
        .address_space:  global
        .offset:         88
        .size:           8
        .value_kind:     global_buffer
      - .actual_access:  write_only
        .address_space:  global
        .offset:         96
        .size:           8
        .value_kind:     global_buffer
    .group_segment_fixed_size: 0
    .kernarg_segment_align: 8
    .kernarg_segment_size: 104
    .language:       OpenCL C
    .language_version:
      - 2
      - 0
    .max_flat_workgroup_size: 170
    .name:           fft_rtc_back_len2040_factors_17_4_3_10_wgs_170_tpt_170_halfLds_sp_op_CI_CI_unitstride_sbrr_dirReg
    .private_segment_fixed_size: 0
    .sgpr_count:     29
    .sgpr_spill_count: 0
    .symbol:         fft_rtc_back_len2040_factors_17_4_3_10_wgs_170_tpt_170_halfLds_sp_op_CI_CI_unitstride_sbrr_dirReg.kd
    .uniform_work_group_size: 1
    .uses_dynamic_stack: false
    .vgpr_count:     138
    .vgpr_spill_count: 0
    .wavefront_size: 32
    .workgroup_processor_mode: 1
amdhsa.target:   amdgcn-amd-amdhsa--gfx1030
amdhsa.version:
  - 1
  - 2
...

	.end_amdgpu_metadata
